;; amdgpu-corpus repo=ROCm/rocFFT kind=compiled arch=gfx906 opt=O3
	.text
	.amdgcn_target "amdgcn-amd-amdhsa--gfx906"
	.amdhsa_code_object_version 6
	.protected	bluestein_single_fwd_len840_dim1_dp_op_CI_CI ; -- Begin function bluestein_single_fwd_len840_dim1_dp_op_CI_CI
	.globl	bluestein_single_fwd_len840_dim1_dp_op_CI_CI
	.p2align	8
	.type	bluestein_single_fwd_len840_dim1_dp_op_CI_CI,@function
bluestein_single_fwd_len840_dim1_dp_op_CI_CI: ; @bluestein_single_fwd_len840_dim1_dp_op_CI_CI
; %bb.0:
	s_load_dwordx4 s[12:15], s[4:5], 0x28
	s_mov_b64 s[38:39], s[2:3]
	v_mul_u32_u24_e32 v1, 0x493, v0
	s_mov_b64 s[36:37], s[0:1]
	v_add_u32_sdwa v4, s6, v1 dst_sel:DWORD dst_unused:UNUSED_PAD src0_sel:DWORD src1_sel:WORD_1
	v_mov_b32_e32 v5, 0
	s_add_u32 s36, s36, s7
	s_waitcnt lgkmcnt(0)
	v_cmp_gt_u64_e32 vcc, s[12:13], v[4:5]
	s_addc_u32 s37, s37, 0
	s_and_saveexec_b64 s[0:1], vcc
	s_cbranch_execz .LBB0_39
; %bb.1:
	s_load_dwordx4 s[0:3], s[4:5], 0x18
	s_load_dwordx2 s[16:17], s[4:5], 0x0
	v_mov_b32_e32 v2, 56
	v_mul_lo_u16_sdwa v1, v1, v2 dst_sel:DWORD dst_unused:UNUSED_PAD src0_sel:WORD_1 src1_sel:DWORD
	v_sub_u16_e32 v27, v0, v1
	s_waitcnt lgkmcnt(0)
	s_load_dwordx4 s[8:11], s[0:1], 0x0
	v_mov_b32_e32 v5, v4
	buffer_store_dword v5, off, s[36:39], 0 offset:136 ; 4-byte Folded Spill
	s_nop 0
	buffer_store_dword v6, off, s[36:39], 0 offset:140 ; 4-byte Folded Spill
	v_lshlrev_b32_e32 v26, 4, v27
	v_add_co_u32_e64 v24, s[6:7], s16, v26
	s_waitcnt lgkmcnt(0)
	v_mad_u64_u32 v[0:1], s[0:1], s10, v4, 0
	v_mad_u64_u32 v[2:3], s[0:1], s8, v27, 0
	;; [unrolled: 1-line block ×4, first 2 shown]
	v_mov_b32_e32 v1, v4
	v_lshlrev_b64 v[0:1], 4, v[0:1]
	v_mov_b32_e32 v6, s15
	v_mov_b32_e32 v3, v5
	v_add_co_u32_e32 v4, vcc, s14, v0
	v_addc_co_u32_e32 v5, vcc, v6, v1, vcc
	v_lshlrev_b64 v[0:1], 4, v[2:3]
	s_mul_i32 s0, s9, 0x1a4
	s_mul_hi_u32 s1, s8, 0x1a4
	v_add_co_u32_e32 v0, vcc, v4, v0
	v_mov_b32_e32 v2, s17
	s_add_i32 s1, s1, s0
	s_mul_i32 s0, s8, 0x1a4
	v_addc_co_u32_e32 v1, vcc, v5, v1, vcc
	v_addc_co_u32_e64 v33, vcc, 0, v2, s[6:7]
	s_lshl_b64 s[14:15], s[0:1], 4
	v_mov_b32_e32 v25, s15
	v_add_co_u32_e32 v10, vcc, s14, v0
	v_addc_co_u32_e32 v11, vcc, v1, v25, vcc
	s_movk_i32 s0, 0x1000
	s_mul_hi_u32 s1, s8, 0xfffffe94
	global_load_dwordx4 v[2:5], v[0:1], off
	global_load_dwordx4 v[6:9], v[10:11], off
	v_add_co_u32_e32 v0, vcc, s0, v24
	s_mul_i32 s0, s9, 0xfffffe94
	s_sub_i32 s1, s1, s8
	s_add_i32 s1, s1, s0
	s_mul_i32 s0, s8, 0xfffffe94
	v_addc_co_u32_e32 v1, vcc, 0, v33, vcc
	s_lshl_b64 s[18:19], s[0:1], 4
	v_mov_b32_e32 v34, s19
	v_add_co_u32_e32 v18, vcc, s18, v10
	v_addc_co_u32_e32 v19, vcc, v11, v34, vcc
	v_add_co_u32_e32 v20, vcc, s14, v18
	global_load_dwordx4 v[52:55], v26, s[16:17]
	global_load_dwordx4 v[44:47], v26, s[16:17] offset:896
	v_addc_co_u32_e32 v21, vcc, v19, v25, vcc
	global_load_dwordx4 v[10:13], v[18:19], off
	global_load_dwordx4 v[14:17], v[20:21], off
	global_load_dwordx4 v[38:41], v[0:1], off offset:2624
	global_load_dwordx4 v[90:93], v[0:1], off offset:3520
	v_add_co_u32_e32 v22, vcc, s18, v20
	v_addc_co_u32_e32 v23, vcc, v21, v34, vcc
	global_load_dwordx4 v[18:21], v[22:23], off
	v_add_co_u32_e32 v22, vcc, s14, v22
	v_addc_co_u32_e32 v23, vcc, v23, v25, vcc
	s_movk_i32 s0, 0x2000
	v_add_co_u32_e32 v32, vcc, s0, v24
	buffer_store_dword v33, off, s[36:39], 0 offset:4 ; 4-byte Folded Spill
	v_addc_co_u32_e32 v33, vcc, 0, v33, vcc
	global_load_dwordx4 v[28:31], v[22:23], off
	v_add_co_u32_e32 v22, vcc, s18, v22
	v_addc_co_u32_e32 v23, vcc, v23, v34, vcc
	global_load_dwordx4 v[94:97], v[32:33], off offset:320
	global_load_dwordx4 v[56:59], v[22:23], off
	global_load_dwordx4 v[106:109], v26, s[16:17] offset:1792
	global_load_dwordx4 v[98:101], v26, s[16:17] offset:2688
	v_add_co_u32_e32 v22, vcc, s14, v22
	v_addc_co_u32_e32 v23, vcc, v23, v25, vcc
	global_load_dwordx4 v[60:63], v[22:23], off
	global_load_dwordx4 v[102:105], v[32:33], off offset:1216
	v_add_co_u32_e32 v22, vcc, s18, v22
	v_addc_co_u32_e32 v23, vcc, v23, v34, vcc
	global_load_dwordx4 v[64:67], v[22:23], off
	global_load_dwordx4 v[110:113], v26, s[16:17] offset:3584
	v_add_co_u32_e32 v22, vcc, s14, v22
	v_addc_co_u32_e32 v23, vcc, v23, v25, vcc
	global_load_dwordx4 v[68:71], v[22:23], off
	global_load_dwordx4 v[114:117], v[32:33], off offset:2112
	v_add_co_u32_e32 v22, vcc, s18, v22
	v_addc_co_u32_e32 v23, vcc, v23, v34, vcc
	global_load_dwordx4 v[72:75], v[22:23], off
	v_add_co_u32_e32 v22, vcc, s14, v22
	v_addc_co_u32_e32 v23, vcc, v23, v25, vcc
	global_load_dwordx4 v[76:79], v[22:23], off
	global_load_dwordx4 v[118:121], v[32:33], off offset:3008
	v_add_co_u32_e32 v22, vcc, s18, v22
	v_addc_co_u32_e32 v23, vcc, v23, v34, vcc
	global_load_dwordx4 v[80:83], v[22:23], off
	global_load_dwordx4 v[48:51], v[0:1], off offset:384
	global_load_dwordx4 v[122:125], v[0:1], off offset:1280
	v_add_co_u32_e32 v0, vcc, s14, v22
	v_addc_co_u32_e32 v1, vcc, v23, v25, vcc
	global_load_dwordx4 v[84:87], v[0:1], off
	global_load_dwordx4 v[126:129], v[32:33], off offset:3904
	v_cmp_gt_u16_e64 s[0:1], 28, v27
	s_waitcnt vmcnt(26)
	v_mul_f64 v[22:23], v[4:5], v[54:55]
	v_mul_f64 v[32:33], v[2:3], v[54:55]
	s_waitcnt vmcnt(22)
	v_mul_f64 v[34:35], v[8:9], v[40:41]
	v_mul_f64 v[36:37], v[6:7], v[40:41]
	v_fma_f64 v[2:3], v[2:3], v[52:53], v[22:23]
	v_mul_f64 v[22:23], v[12:13], v[46:47]
	v_fma_f64 v[4:5], v[4:5], v[52:53], -v[32:33]
	v_fma_f64 v[6:7], v[6:7], v[38:39], v[34:35]
	buffer_store_dword v38, off, s[36:39], 0 offset:40 ; 4-byte Folded Spill
	s_nop 0
	buffer_store_dword v39, off, s[36:39], 0 offset:44 ; 4-byte Folded Spill
	buffer_store_dword v40, off, s[36:39], 0 offset:48 ; 4-byte Folded Spill
	;; [unrolled: 1-line block ×3, first 2 shown]
	s_waitcnt vmcnt(25)
	v_mul_f64 v[34:35], v[16:17], v[92:93]
	v_mul_f64 v[32:33], v[10:11], v[46:47]
	v_fma_f64 v[10:11], v[10:11], v[44:45], v[22:23]
	buffer_store_dword v44, off, s[36:39], 0 offset:8 ; 4-byte Folded Spill
	s_nop 0
	buffer_store_dword v45, off, s[36:39], 0 offset:12 ; 4-byte Folded Spill
	buffer_store_dword v46, off, s[36:39], 0 offset:16 ; 4-byte Folded Spill
	;; [unrolled: 1-line block ×3, first 2 shown]
	s_waitcnt vmcnt(25)
	v_mul_f64 v[42:43], v[30:31], v[96:97]
	s_waitcnt vmcnt(23)
	v_mul_f64 v[40:41], v[18:19], v[108:109]
	v_mul_f64 v[88:89], v[28:29], v[96:97]
	v_fma_f64 v[28:29], v[28:29], v[94:95], v[42:43]
	s_waitcnt vmcnt(13)
	v_mul_f64 v[22:23], v[78:79], v[120:121]
	v_fma_f64 v[8:9], v[8:9], v[38:39], -v[36:37]
	v_mul_f64 v[38:39], v[20:21], v[108:109]
	v_mul_f64 v[36:37], v[14:15], v[92:93]
	v_fma_f64 v[14:15], v[14:15], v[90:91], v[34:35]
	buffer_store_dword v90, off, s[36:39], 0 offset:24 ; 4-byte Folded Spill
	s_nop 0
	buffer_store_dword v91, off, s[36:39], 0 offset:28 ; 4-byte Folded Spill
	buffer_store_dword v92, off, s[36:39], 0 offset:32 ; 4-byte Folded Spill
	;; [unrolled: 1-line block ×3, first 2 shown]
	s_waitcnt vmcnt(14)
	v_mul_f64 v[34:35], v[80:81], v[124:125]
	v_fma_f64 v[12:13], v[12:13], v[44:45], -v[32:33]
	v_mul_f64 v[32:33], v[82:83], v[124:125]
	v_fma_f64 v[18:19], v[18:19], v[106:107], v[38:39]
	buffer_store_dword v106, off, s[36:39], 0 offset:104 ; 4-byte Folded Spill
	s_nop 0
	buffer_store_dword v107, off, s[36:39], 0 offset:108 ; 4-byte Folded Spill
	buffer_store_dword v108, off, s[36:39], 0 offset:112 ; 4-byte Folded Spill
	;; [unrolled: 1-line block ×4, first 2 shown]
	s_nop 0
	buffer_store_dword v95, off, s[36:39], 0 offset:60 ; 4-byte Folded Spill
	buffer_store_dword v96, off, s[36:39], 0 offset:64 ; 4-byte Folded Spill
	;; [unrolled: 1-line block ×3, first 2 shown]
	s_load_dwordx2 s[12:13], s[4:5], 0x38
	s_load_dwordx4 s[8:11], s[2:3], 0x0
	s_waitcnt vmcnt(20)
	v_mul_f64 v[38:39], v[84:85], v[128:129]
	v_fma_f64 v[16:17], v[16:17], v[90:91], -v[36:37]
	v_mul_f64 v[36:37], v[86:87], v[128:129]
	v_fma_f64 v[20:21], v[20:21], v[106:107], -v[40:41]
	v_fma_f64 v[30:31], v[30:31], v[94:95], -v[88:89]
	ds_write_b128 v26, v[2:5]
	ds_write_b128 v26, v[6:9] offset:6720
	ds_write_b128 v26, v[10:13] offset:896
	;; [unrolled: 1-line block ×5, first 2 shown]
	v_mul_f64 v[2:3], v[58:59], v[100:101]
	v_mul_f64 v[6:7], v[62:63], v[104:105]
	;; [unrolled: 1-line block ×8, first 2 shown]
	v_fma_f64 v[2:3], v[56:57], v[98:99], v[2:3]
	buffer_store_dword v98, off, s[36:39], 0 offset:72 ; 4-byte Folded Spill
	s_nop 0
	buffer_store_dword v99, off, s[36:39], 0 offset:76 ; 4-byte Folded Spill
	buffer_store_dword v100, off, s[36:39], 0 offset:80 ; 4-byte Folded Spill
	buffer_store_dword v101, off, s[36:39], 0 offset:84 ; 4-byte Folded Spill
	v_fma_f64 v[6:7], v[60:61], v[102:103], v[6:7]
	buffer_store_dword v102, off, s[36:39], 0 offset:88 ; 4-byte Folded Spill
	s_nop 0
	buffer_store_dword v103, off, s[36:39], 0 offset:92 ; 4-byte Folded Spill
	buffer_store_dword v104, off, s[36:39], 0 offset:96 ; 4-byte Folded Spill
	buffer_store_dword v105, off, s[36:39], 0 offset:100 ; 4-byte Folded Spill
	;; [unrolled: 6-line block ×4, first 2 shown]
	v_mul_f64 v[30:31], v[76:77], v[120:121]
	v_fma_f64 v[28:29], v[76:77], v[118:119], v[22:23]
	buffer_store_dword v118, off, s[36:39], 0 offset:160 ; 4-byte Folded Spill
	s_nop 0
	buffer_store_dword v119, off, s[36:39], 0 offset:164 ; 4-byte Folded Spill
	buffer_store_dword v120, off, s[36:39], 0 offset:168 ; 4-byte Folded Spill
	buffer_store_dword v121, off, s[36:39], 0 offset:172 ; 4-byte Folded Spill
	v_fma_f64 v[56:57], v[80:81], v[122:123], v[32:33]
	buffer_store_dword v122, off, s[36:39], 0 offset:176 ; 4-byte Folded Spill
	s_nop 0
	buffer_store_dword v123, off, s[36:39], 0 offset:180 ; 4-byte Folded Spill
	buffer_store_dword v124, off, s[36:39], 0 offset:184 ; 4-byte Folded Spill
	buffer_store_dword v125, off, s[36:39], 0 offset:188 ; 4-byte Folded Spill
	;; [unrolled: 6-line block ×3, first 2 shown]
	v_mul_f64 v[18:19], v[74:75], v[50:51]
	v_mul_f64 v[20:21], v[72:73], v[50:51]
	v_fma_f64 v[18:19], v[72:73], v[48:49], v[18:19]
	v_fma_f64 v[20:21], v[74:75], v[48:49], -v[20:21]
	v_fma_f64 v[4:5], v[58:59], v[98:99], -v[4:5]
	;; [unrolled: 1-line block ×8, first 2 shown]
	ds_write_b128 v26, v[2:5] offset:2688
	ds_write_b128 v26, v[6:9] offset:9408
	;; [unrolled: 1-line block ×8, first 2 shown]
	s_and_saveexec_b64 s[2:3], s[0:1]
	s_cbranch_execz .LBB0_3
; %bb.2:
	buffer_load_dword v11, off, s[36:39], 0 offset:4 ; 4-byte Folded Reload
	v_mov_b32_e32 v2, s19
	v_add_co_u32_e32 v8, vcc, s18, v0
	v_addc_co_u32_e32 v9, vcc, v1, v2, vcc
	v_add_co_u32_e32 v4, vcc, 0x1000, v24
	v_mov_b32_e32 v10, s15
	global_load_dwordx4 v[0:3], v[8:9], off
	s_waitcnt vmcnt(1)
	v_addc_co_u32_e32 v5, vcc, 0, v11, vcc
	v_add_co_u32_e32 v16, vcc, s14, v8
	v_addc_co_u32_e32 v17, vcc, v9, v10, vcc
	s_movk_i32 s14, 0x3000
	v_add_co_u32_e32 v18, vcc, s14, v24
	global_load_dwordx4 v[4:7], v[4:5], off offset:2176
	v_addc_co_u32_e32 v19, vcc, 0, v11, vcc
	global_load_dwordx4 v[8:11], v[18:19], off offset:704
	global_load_dwordx4 v[12:15], v[16:17], off
	s_waitcnt vmcnt(2)
	v_mul_f64 v[16:17], v[2:3], v[6:7]
	v_mul_f64 v[6:7], v[0:1], v[6:7]
	s_waitcnt vmcnt(0)
	v_mul_f64 v[18:19], v[14:15], v[10:11]
	v_mul_f64 v[10:11], v[12:13], v[10:11]
	v_fma_f64 v[0:1], v[0:1], v[4:5], v[16:17]
	v_fma_f64 v[2:3], v[2:3], v[4:5], -v[6:7]
	v_fma_f64 v[4:5], v[12:13], v[8:9], v[18:19]
	v_fma_f64 v[6:7], v[14:15], v[8:9], -v[10:11]
	ds_write_b128 v26, v[0:3] offset:6272
	ds_write_b128 v26, v[4:7] offset:12992
.LBB0_3:
	s_or_b64 exec, exec, s[2:3]
	s_waitcnt lgkmcnt(0)
	; wave barrier
	s_waitcnt lgkmcnt(0)
	ds_read_b128 v[92:95], v26
	ds_read_b128 v[96:99], v26 offset:896
	ds_read_b128 v[4:7], v26 offset:7616
	;; [unrolled: 1-line block ×13, first 2 shown]
                                        ; implicit-def: $vgpr72_vgpr73
                                        ; implicit-def: $vgpr76_vgpr77
	s_and_saveexec_b64 s[2:3], s[0:1]
	s_cbranch_execz .LBB0_5
; %bb.4:
	ds_read_b128 v[72:75], v26 offset:6272
	ds_read_b128 v[76:79], v26 offset:12992
.LBB0_5:
	s_or_b64 exec, exec, s[2:3]
	s_waitcnt lgkmcnt(3)
	v_add_f64 v[8:9], v[92:93], -v[8:9]
	v_add_f64 v[10:11], v[94:95], -v[10:11]
	;; [unrolled: 1-line block ×10, first 2 shown]
	v_fma_f64 v[0:1], v[92:93], 2.0, -v[8:9]
	v_fma_f64 v[2:3], v[94:95], 2.0, -v[10:11]
	;; [unrolled: 1-line block ×6, first 2 shown]
	s_waitcnt lgkmcnt(1)
	v_add_f64 v[80:81], v[56:57], -v[80:81]
	v_add_f64 v[82:83], v[58:59], -v[82:83]
	s_waitcnt lgkmcnt(0)
	v_add_f64 v[100:101], v[68:69], -v[60:61]
	v_add_f64 v[102:103], v[70:71], -v[62:63]
	;; [unrolled: 1-line block ×4, first 2 shown]
	v_fma_f64 v[88:89], v[88:89], 2.0, -v[104:105]
	v_fma_f64 v[90:91], v[90:91], 2.0, -v[106:107]
	;; [unrolled: 1-line block ×4, first 2 shown]
	s_movk_i32 s2, 0x70
	v_fma_f64 v[76:77], v[56:57], 2.0, -v[80:81]
	v_fma_f64 v[78:79], v[58:59], 2.0, -v[82:83]
	;; [unrolled: 1-line block ×4, first 2 shown]
	v_add_co_u32_e32 v20, vcc, s2, v27
	s_movk_i32 s2, 0xa8
	v_fma_f64 v[56:57], v[72:73], 2.0, -v[60:61]
	v_fma_f64 v[58:59], v[74:75], 2.0, -v[62:63]
	v_add_co_u32_e32 v12, vcc, 56, v27
	v_add_co_u32_e32 v14, vcc, s2, v27
	s_movk_i32 s2, 0xe0
	v_lshlrev_b32_e32 v17, 5, v27
	v_add_co_u32_e32 v13, vcc, s2, v27
	s_waitcnt lgkmcnt(0)
	; wave barrier
	ds_write_b128 v17, v[0:3]
	ds_write_b128 v17, v[8:11] offset:16
	v_lshlrev_b32_e32 v1, 5, v12
	s_load_dwordx2 s[4:5], s[4:5], 0x8
	v_lshlrev_b32_e32 v15, 1, v27
	ds_write_b128 v1, v[4:7] offset:16
	v_lshlrev_b32_e32 v2, 5, v20
	v_lshlrev_b32_e32 v3, 5, v14
	;; [unrolled: 1-line block ×3, first 2 shown]
	ds_write_b128 v1, v[92:95]
	ds_write_b128 v2, v[96:99]
	ds_write_b128 v2, v[28:31] offset:16
	ds_write_b128 v3, v[88:91]
	ds_write_b128 v3, v[104:107] offset:16
	ds_write_b128 v4, v[64:67]
	buffer_store_dword v4, off, s[36:39], 0 offset:280 ; 4-byte Folded Spill
	ds_write_b128 v4, v[84:87] offset:16
	v_add_u32_e32 v4, 0x230, v15
	s_movk_i32 s2, 0x188
	v_lshlrev_b32_e32 v5, 4, v4
	v_add_co_u32_e32 v16, vcc, s2, v27
	v_lshlrev_b32_e32 v6, 4, v15
	buffer_store_dword v5, off, s[36:39], 0 offset:288 ; 4-byte Folded Spill
	ds_write_b128 v5, v[80:83] offset:16
	v_add_u32_e32 v5, 0x2a0, v15
	v_lshlrev_b32_e32 v0, 1, v12
	buffer_store_dword v1, off, s[36:39], 0 offset:264 ; 4-byte Folded Spill
	v_lshlrev_b32_e32 v1, 1, v20
	buffer_store_dword v2, off, s[36:39], 0 offset:268 ; 4-byte Folded Spill
	;; [unrolled: 2-line block ×3, first 2 shown]
	v_lshlrev_b32_e32 v3, 1, v13
	ds_write_b128 v6, v[76:79] offset:8960
	v_lshlrev_b32_e32 v7, 4, v5
	ds_write_b128 v6, v[68:71] offset:10752
	v_lshlrev_b32_e32 v6, 5, v16
	buffer_store_dword v7, off, s[36:39], 0 offset:292 ; 4-byte Folded Spill
	ds_write_b128 v7, v[100:103] offset:16
	buffer_store_dword v6, off, s[36:39], 0 offset:308 ; 4-byte Folded Spill
	s_and_saveexec_b64 s[2:3], s[0:1]
	s_cbranch_execz .LBB0_7
; %bb.6:
	v_lshlrev_b32_e32 v6, 5, v16
	ds_write_b128 v6, v[56:59]
	ds_write_b128 v6, v[60:63] offset:16
.LBB0_7:
	s_or_b64 exec, exec, s[2:3]
	s_waitcnt lgkmcnt(0)
	; wave barrier
	s_waitcnt lgkmcnt(0)
	ds_read_b128 v[64:67], v26
	ds_read_b128 v[68:71], v26 offset:896
	ds_read_b128 v[92:95], v26 offset:7616
	ds_read_b128 v[96:99], v26 offset:8512
	ds_read_b128 v[76:79], v26 offset:1792
	ds_read_b128 v[72:75], v26 offset:2688
	ds_read_b128 v[100:103], v26 offset:9408
	ds_read_b128 v[104:107], v26 offset:10304
	ds_read_b128 v[84:87], v26 offset:3584
	ds_read_b128 v[80:83], v26 offset:4480
	ds_read_b128 v[116:119], v26 offset:6720
	ds_read_b128 v[88:91], v26 offset:5376
	ds_read_b128 v[112:115], v26 offset:11200
	ds_read_b128 v[108:111], v26 offset:12096
	s_and_saveexec_b64 s[2:3], s[0:1]
	s_cbranch_execz .LBB0_9
; %bb.8:
	ds_read_b128 v[56:59], v26 offset:6272
	ds_read_b128 v[60:63], v26 offset:12992
.LBB0_9:
	s_or_b64 exec, exec, s[2:3]
	v_and_b32_e32 v31, 1, v27
	v_lshlrev_b32_e32 v6, 4, v31
	global_load_dwordx4 v[176:179], v6, s[4:5]
	s_movk_i32 s2, 0x7c
	s_movk_i32 s3, 0xfc
	;; [unrolled: 1-line block ×5, first 2 shown]
	v_and_or_b32 v6, v15, s2, v31
	v_and_or_b32 v7, v0, s3, v31
	;; [unrolled: 1-line block ×7, first 2 shown]
	v_lshlrev_b32_e32 v46, 4, v6
	v_lshlrev_b32_e32 v45, 4, v7
	;; [unrolled: 1-line block ×7, first 2 shown]
	s_waitcnt lgkmcnt(0)
	; wave barrier
	s_waitcnt lgkmcnt(0)
	buffer_store_dword v46, off, s[36:39], 0 offset:284 ; 4-byte Folded Spill
	s_waitcnt vmcnt(1)
	v_mul_f64 v[6:7], v[118:119], v[178:179]
	v_mul_f64 v[8:9], v[116:117], v[178:179]
	;; [unrolled: 1-line block ×16, first 2 shown]
	v_fma_f64 v[6:7], v[116:117], v[176:177], -v[6:7]
	v_fma_f64 v[8:9], v[118:119], v[176:177], v[8:9]
	v_fma_f64 v[60:61], v[60:61], v[176:177], -v[124:125]
	v_fma_f64 v[62:63], v[62:63], v[176:177], v[126:127]
	;; [unrolled: 2-line block ×8, first 2 shown]
	v_add_f64 v[6:7], v[64:65], -v[6:7]
	v_add_f64 v[8:9], v[66:67], -v[8:9]
	v_add_f64 v[60:61], v[56:57], -v[60:61]
	v_add_f64 v[62:63], v[58:59], -v[62:63]
	v_add_f64 v[92:93], v[68:69], -v[10:11]
	v_add_f64 v[94:95], v[70:71], -v[17:18]
	v_add_f64 v[96:97], v[76:77], -v[21:22]
	v_add_f64 v[98:99], v[78:79], -v[28:29]
	v_add_f64 v[100:101], v[72:73], -v[32:33]
	v_add_f64 v[102:103], v[74:75], -v[34:35]
	v_add_f64 v[104:105], v[84:85], -v[36:37]
	v_add_f64 v[106:107], v[86:87], -v[38:39]
	v_add_f64 v[108:109], v[80:81], -v[40:41]
	v_add_f64 v[110:111], v[82:83], -v[42:43]
	v_add_f64 v[112:113], v[88:89], -v[112:113]
	v_add_f64 v[114:115], v[90:91], -v[114:115]
	v_fma_f64 v[64:65], v[64:65], 2.0, -v[6:7]
	v_fma_f64 v[66:67], v[66:67], 2.0, -v[8:9]
	;; [unrolled: 1-line block ×16, first 2 shown]
	ds_write_b128 v46, v[6:9] offset:32
	v_lshlrev_b32_e32 v6, 1, v16
	ds_write_b128 v46, v[64:67]
	ds_write_b128 v45, v[68:71]
	buffer_store_dword v45, off, s[36:39], 0 offset:260 ; 4-byte Folded Spill
	ds_write_b128 v45, v[92:95] offset:32
	ds_write_b128 v44, v[76:79]
	buffer_store_dword v44, off, s[36:39], 0 offset:252 ; 4-byte Folded Spill
	ds_write_b128 v44, v[96:99] offset:32
	;; [unrolled: 3-line block ×6, first 2 shown]
	buffer_store_dword v6, off, s[36:39], 0 ; 4-byte Folded Spill
	s_and_saveexec_b64 s[2:3], s[0:1]
	s_cbranch_execz .LBB0_11
; %bb.10:
	buffer_load_dword v6, off, s[36:39], 0  ; 4-byte Folded Reload
	s_movk_i32 s14, 0x37c
	s_waitcnt vmcnt(0)
	v_and_or_b32 v6, v6, s14, v31
	v_lshlrev_b32_e32 v6, 4, v6
	ds_write_b128 v6, v[56:59]
	ds_write_b128 v6, v[60:63] offset:32
.LBB0_11:
	s_or_b64 exec, exec, s[2:3]
	s_waitcnt lgkmcnt(0)
	; wave barrier
	s_waitcnt lgkmcnt(0)
	ds_read_b128 v[64:67], v26
	ds_read_b128 v[68:71], v26 offset:896
	ds_read_b128 v[80:83], v26 offset:7616
	;; [unrolled: 1-line block ×13, first 2 shown]
	s_and_saveexec_b64 s[2:3], s[0:1]
	s_cbranch_execz .LBB0_13
; %bb.12:
	ds_read_b128 v[56:59], v26 offset:6272
	ds_read_b128 v[60:63], v26 offset:12992
.LBB0_13:
	s_or_b64 exec, exec, s[2:3]
	v_and_b32_e32 v30, 3, v27
	v_lshlrev_b32_e32 v6, 4, v30
	global_load_dwordx4 v[188:191], v6, s[4:5] offset:32
	s_movk_i32 s3, 0xf8
	s_movk_i32 s14, 0x1f8
	;; [unrolled: 1-line block ×5, first 2 shown]
	v_and_or_b32 v0, v0, s3, v30
	v_and_or_b32 v1, v1, s14, v30
	;; [unrolled: 1-line block ×7, first 2 shown]
	v_lshlrev_b32_e32 v46, 4, v0
	v_lshlrev_b32_e32 v45, 4, v1
	;; [unrolled: 1-line block ×7, first 2 shown]
	s_waitcnt lgkmcnt(0)
	; wave barrier
	s_waitcnt lgkmcnt(0)
	buffer_store_dword v47, off, s[36:39], 0 offset:304 ; 4-byte Folded Spill
	s_waitcnt vmcnt(1)
	v_mul_f64 v[0:1], v[118:119], v[190:191]
	v_mul_f64 v[2:3], v[116:117], v[190:191]
	;; [unrolled: 1-line block ×16, first 2 shown]
	v_fma_f64 v[0:1], v[116:117], v[188:189], -v[0:1]
	v_fma_f64 v[2:3], v[118:119], v[188:189], v[2:3]
	v_fma_f64 v[4:5], v[80:81], v[188:189], -v[4:5]
	v_fma_f64 v[6:7], v[82:83], v[188:189], v[6:7]
	;; [unrolled: 2-line block ×8, first 2 shown]
	v_add_f64 v[0:1], v[64:65], -v[0:1]
	v_add_f64 v[2:3], v[66:67], -v[2:3]
	;; [unrolled: 1-line block ×16, first 2 shown]
	v_fma_f64 v[64:65], v[64:65], 2.0, -v[0:1]
	v_fma_f64 v[66:67], v[66:67], 2.0, -v[2:3]
	;; [unrolled: 1-line block ×14, first 2 shown]
	ds_write_b128 v47, v[0:3] offset:64
	ds_write_b128 v47, v[64:67]
	ds_write_b128 v46, v[68:71]
	buffer_store_dword v46, off, s[36:39], 0 offset:300 ; 4-byte Folded Spill
	ds_write_b128 v46, v[4:7] offset:64
	ds_write_b128 v45, v[76:79]
	buffer_store_dword v45, off, s[36:39], 0 offset:296 ; 4-byte Folded Spill
	ds_write_b128 v45, v[8:11] offset:64
	;; [unrolled: 3-line block ×6, first 2 shown]
	s_and_saveexec_b64 s[2:3], s[0:1]
	s_cbranch_execz .LBB0_15
; %bb.14:
	buffer_load_dword v4, off, s[36:39], 0  ; 4-byte Folded Reload
	v_fma_f64 v[2:3], v[58:59], 2.0, -v[82:83]
	v_fma_f64 v[0:1], v[56:57], 2.0, -v[80:81]
	s_movk_i32 s14, 0x378
	s_waitcnt vmcnt(0)
	v_and_or_b32 v4, v4, s14, v30
	v_lshlrev_b32_e32 v4, 4, v4
	ds_write_b128 v4, v[0:3]
	ds_write_b128 v4, v[80:83] offset:64
.LBB0_15:
	s_or_b64 exec, exec, s[2:3]
	v_and_b32_e32 v19, 7, v27
	v_lshlrev_b32_e32 v0, 5, v19
	s_waitcnt lgkmcnt(0)
	; wave barrier
	s_waitcnt lgkmcnt(0)
	global_load_dwordx4 v[184:187], v0, s[4:5] offset:96
	global_load_dwordx4 v[180:183], v0, s[4:5] offset:112
	ds_read_b128 v[0:3], v26
	ds_read_b128 v[4:7], v26 offset:896
	ds_read_b128 v[8:11], v26 offset:8960
	;; [unrolled: 1-line block ×14, first 2 shown]
	s_mov_b32 s2, 0xe8584caa
	s_mov_b32 s3, 0x3febb67a
	s_mov_b32 s15, 0xbfebb67a
	s_mov_b32 s14, s2
	s_waitcnt lgkmcnt(0)
	; wave barrier
	s_waitcnt lgkmcnt(0)
	s_mov_b32 s19, 0xbfee6f0e
	s_mov_b32 s21, 0xbfe2cf23
	;; [unrolled: 1-line block ×4, first 2 shown]
                                        ; implicit-def: $vgpr212_vgpr213
                                        ; implicit-def: $vgpr216_vgpr217
                                        ; implicit-def: $vgpr204_vgpr205
                                        ; implicit-def: $vgpr208_vgpr209
	s_waitcnt vmcnt(1)
	v_mul_f64 v[21:22], v[86:87], v[186:187]
	v_mul_f64 v[28:29], v[84:85], v[186:187]
	s_waitcnt vmcnt(0)
	v_mul_f64 v[32:33], v[10:11], v[182:183]
	v_mul_f64 v[34:35], v[8:9], v[182:183]
	;; [unrolled: 1-line block ×12, first 2 shown]
	v_fma_f64 v[21:22], v[84:85], v[184:185], -v[21:22]
	v_fma_f64 v[28:29], v[86:87], v[184:185], v[28:29]
	v_fma_f64 v[8:9], v[8:9], v[180:181], -v[32:33]
	v_fma_f64 v[10:11], v[10:11], v[180:181], v[34:35]
	v_fma_f64 v[34:35], v[58:59], v[184:185], v[38:39]
	;; [unrolled: 1-line block ×3, first 2 shown]
	v_mul_f64 v[112:113], v[94:95], v[186:187]
	v_mul_f64 v[114:115], v[92:93], v[186:187]
	;; [unrolled: 1-line block ×4, first 2 shown]
	v_fma_f64 v[32:33], v[56:57], v[184:185], -v[36:37]
	v_fma_f64 v[15:16], v[15:16], v[180:181], -v[40:41]
	;; [unrolled: 1-line block ×3, first 2 shown]
	v_fma_f64 v[38:39], v[62:63], v[184:185], v[106:107]
	v_fma_f64 v[40:41], v[72:73], v[180:181], -v[108:109]
	v_fma_f64 v[42:43], v[74:75], v[180:181], v[110:111]
	v_fma_f64 v[106:107], v[76:77], v[180:181], -v[116:117]
	v_fma_f64 v[108:109], v[78:79], v[180:181], v[118:119]
	v_add_f64 v[58:59], v[21:22], v[8:9]
	v_add_f64 v[60:61], v[28:29], -v[10:11]
	v_add_f64 v[62:63], v[2:3], v[28:29]
	v_add_f64 v[28:29], v[28:29], v[10:11]
	v_add_f64 v[76:77], v[34:35], -v[17:18]
	v_add_f64 v[78:79], v[6:7], v[34:35]
	v_add_f64 v[34:35], v[34:35], v[17:18]
	v_mul_f64 v[120:121], v[98:99], v[186:187]
	v_mul_f64 v[124:125], v[102:103], v[182:183]
	v_fma_f64 v[104:105], v[92:93], v[184:185], -v[112:113]
	v_fma_f64 v[94:95], v[94:95], v[184:185], v[114:115]
	v_fma_f64 v[98:99], v[98:99], v[184:185], v[122:123]
	v_fma_f64 v[102:103], v[102:103], v[180:181], v[126:127]
	v_add_f64 v[56:57], v[0:1], v[21:22]
	v_add_f64 v[21:22], v[21:22], -v[8:9]
	v_add_f64 v[72:73], v[4:5], v[32:33]
	v_add_f64 v[74:75], v[32:33], v[15:16]
	v_add_f64 v[32:33], v[32:33], -v[15:16]
	v_add_f64 v[92:93], v[38:39], -v[42:43]
	v_add_f64 v[110:111], v[66:67], v[38:39]
	v_add_f64 v[38:39], v[38:39], v[42:43]
	v_fma_f64 v[58:59], v[58:59], -0.5, v[0:1]
	v_fma_f64 v[28:29], v[28:29], -0.5, v[2:3]
	v_add_f64 v[2:3], v[78:79], v[17:18]
	v_fma_f64 v[17:18], v[34:35], -0.5, v[6:7]
	v_fma_f64 v[96:97], v[96:97], v[184:185], -v[120:121]
	v_fma_f64 v[100:101], v[100:101], v[180:181], -v[124:125]
	v_add_f64 v[84:85], v[64:65], v[36:37]
	v_add_f64 v[86:87], v[36:37], v[40:41]
	;; [unrolled: 1-line block ×7, first 2 shown]
	v_fma_f64 v[72:73], v[74:75], -0.5, v[4:5]
	v_fma_f64 v[38:39], v[38:39], -0.5, v[66:67]
	v_fma_f64 v[56:57], v[60:61], s[2:3], v[58:59]
	v_fma_f64 v[60:61], v[60:61], s[14:15], v[58:59]
	;; [unrolled: 1-line block ×6, first 2 shown]
	v_add_f64 v[17:18], v[98:99], v[102:103]
	v_add_f64 v[21:22], v[70:71], v[94:95]
	v_add_f64 v[36:37], v[36:37], -v[40:41]
	v_add_f64 v[116:117], v[94:95], -v[108:109]
	v_add_f64 v[120:121], v[96:97], v[100:101]
	v_add_f64 v[4:5], v[84:85], v[40:41]
	v_fma_f64 v[34:35], v[86:87], -0.5, v[64:65]
	v_fma_f64 v[40:41], v[114:115], -0.5, v[68:69]
	v_add_f64 v[112:113], v[68:69], v[104:105]
	v_add_f64 v[6:7], v[110:111], v[42:43]
	v_fma_f64 v[28:29], v[118:119], -0.5, v[70:71]
	v_add_f64 v[32:33], v[104:105], -v[106:107]
	v_fma_f64 v[42:43], v[17:18], -0.5, v[90:91]
	v_add_f64 v[17:18], v[21:22], v[108:109]
	v_lshrrev_b32_e32 v21, 3, v27
	v_fma_f64 v[64:65], v[76:77], s[2:3], v[72:73]
	v_mul_u32_u24_e32 v21, 24, v21
	v_or_b32_e32 v21, v21, v19
	v_lshlrev_b32_e32 v21, 4, v21
	v_fma_f64 v[72:73], v[76:77], s[14:15], v[72:73]
	v_fma_f64 v[76:77], v[92:93], s[2:3], v[34:35]
	;; [unrolled: 1-line block ×7, first 2 shown]
	v_add_f64 v[34:35], v[88:89], v[96:97]
	v_fma_f64 v[36:37], v[120:121], -0.5, v[88:89]
	v_add_f64 v[38:39], v[98:99], -v[102:103]
	v_add_f64 v[40:41], v[90:91], v[98:99]
	v_add_f64 v[104:105], v[96:97], -v[100:101]
	ds_write_b128 v21, v[8:11]
	ds_write_b128 v21, v[56:59] offset:128
	v_lshrrev_b32_e32 v8, 3, v12
	v_mul_u32_u24_e32 v8, 24, v8
	v_or_b32_e32 v8, v8, v19
	v_lshlrev_b32_e32 v8, 4, v8
	v_add_f64 v[15:16], v[112:113], v[106:107]
	v_fma_f64 v[94:95], v[32:33], s[2:3], v[28:29]
	buffer_store_dword v21, off, s[36:39], 0 offset:208 ; 4-byte Folded Spill
	ds_write_b128 v21, v[60:63] offset:256
	ds_write_b128 v8, v[0:3]
	ds_write_b128 v8, v[64:67] offset:128
	v_lshrrev_b32_e32 v0, 3, v20
	v_fma_f64 v[70:71], v[32:33], s[14:15], v[28:29]
	v_mul_u32_u24_e32 v0, 24, v0
	v_or_b32_e32 v0, v0, v19
	v_lshlrev_b32_e32 v0, 4, v0
	v_add_f64 v[88:89], v[34:35], v[100:101]
	v_fma_f64 v[100:101], v[38:39], s[14:15], v[36:37]
	v_add_f64 v[90:91], v[40:41], v[102:103]
	v_fma_f64 v[102:103], v[104:105], s[2:3], v[42:43]
	buffer_store_dword v8, off, s[36:39], 0 offset:212 ; 4-byte Folded Spill
	ds_write_b128 v8, v[72:75] offset:256
	ds_write_b128 v0, v[4:7]
	ds_write_b128 v0, v[76:79] offset:128
	buffer_store_dword v0, off, s[36:39], 0 offset:216 ; 4-byte Folded Spill
	ds_write_b128 v0, v[84:87] offset:256
	v_lshrrev_b32_e32 v0, 3, v14
	v_fma_f64 v[96:97], v[38:39], s[2:3], v[36:37]
	v_fma_f64 v[98:99], v[104:105], s[14:15], v[42:43]
	v_mul_u32_u24_e32 v0, 24, v0
	v_or_b32_e32 v0, v0, v19
	v_lshlrev_b32_e32 v0, 4, v0
	ds_write_b128 v0, v[15:18]
	ds_write_b128 v0, v[68:71] offset:128
	buffer_store_dword v0, off, s[36:39], 0 offset:220 ; 4-byte Folded Spill
	ds_write_b128 v0, v[92:95] offset:256
	v_lshrrev_b32_e32 v0, 3, v13
	v_mul_u32_u24_e32 v0, 24, v0
	v_or_b32_e32 v0, v0, v19
	v_lshlrev_b32_e32 v0, 4, v0
	s_movk_i32 s2, 0xab
	ds_write_b128 v0, v[88:91]
	ds_write_b128 v0, v[96:99] offset:128
	buffer_store_dword v0, off, s[36:39], 0 offset:224 ; 4-byte Folded Spill
	ds_write_b128 v0, v[100:103] offset:256
	v_mul_lo_u16_sdwa v0, v27, s2 dst_sel:DWORD dst_unused:UNUSED_PAD src0_sel:BYTE_0 src1_sel:DWORD
	v_lshrrev_b16_e32 v0, 12, v0
	v_mul_lo_u16_e32 v1, 24, v0
	v_sub_u16_e32 v1, v27, v1
	v_and_b32_e32 v1, 0xff, v1
	v_lshlrev_b32_e32 v2, 6, v1
	s_waitcnt lgkmcnt(0)
	; wave barrier
	s_waitcnt lgkmcnt(0)
	global_load_dwordx4 v[148:151], v2, s[4:5] offset:352
	global_load_dwordx4 v[140:143], v2, s[4:5] offset:368
	;; [unrolled: 1-line block ×4, first 2 shown]
	v_mul_lo_u16_sdwa v2, v12, s2 dst_sel:DWORD dst_unused:UNUSED_PAD src0_sel:BYTE_0 src1_sel:DWORD
	v_lshrrev_b16_e32 v2, 12, v2
	v_mul_lo_u16_e32 v3, 24, v2
	v_sub_u16_e32 v3, v12, v3
	v_and_b32_e32 v3, 0xff, v3
	v_lshlrev_b32_e32 v4, 6, v3
	global_load_dwordx4 v[156:159], v4, s[4:5] offset:352
	global_load_dwordx4 v[152:155], v4, s[4:5] offset:368
	;; [unrolled: 1-line block ×4, first 2 shown]
	v_mul_lo_u16_sdwa v4, v20, s2 dst_sel:DWORD dst_unused:UNUSED_PAD src0_sel:BYTE_0 src1_sel:DWORD
	v_lshrrev_b16_e32 v4, 12, v4
	v_mul_lo_u16_e32 v5, 24, v4
	v_sub_u16_e32 v5, v20, v5
	v_and_b32_e32 v5, 0xff, v5
	v_lshlrev_b32_e32 v6, 6, v5
	global_load_dwordx4 v[172:175], v6, s[4:5] offset:352
	global_load_dwordx4 v[168:171], v6, s[4:5] offset:368
	;; [unrolled: 1-line block ×4, first 2 shown]
	ds_read_b128 v[6:9], v26
	ds_read_b128 v[10:13], v26 offset:896
	ds_read_b128 v[14:17], v26 offset:5376
	;; [unrolled: 1-line block ×14, first 2 shown]
	s_mov_b32 s2, 0x134454ff
	s_mov_b32 s3, 0x3fee6f0e
	;; [unrolled: 1-line block ×6, first 2 shown]
	v_mul_u32_u24_e32 v0, 0x78, v0
	v_add_lshl_u32 v25, v0, v1, 4
	v_mul_u32_u24_e32 v0, 0x78, v2
	s_waitcnt lgkmcnt(0)
	; wave barrier
	s_waitcnt lgkmcnt(0)
                                        ; implicit-def: $vgpr124_vgpr125
	s_waitcnt vmcnt(11) lgkmcnt(8)
	v_mul_f64 v[18:19], v[70:71], v[150:151]
	s_waitcnt vmcnt(10)
	v_mul_f64 v[28:29], v[16:17], v[142:143]
	v_mul_f64 v[21:22], v[68:69], v[150:151]
	;; [unrolled: 1-line block ×3, first 2 shown]
	s_waitcnt vmcnt(9) lgkmcnt(4)
	v_mul_f64 v[34:35], v[90:91], v[134:135]
	v_mul_f64 v[36:37], v[88:89], v[134:135]
	s_waitcnt vmcnt(8)
	v_mul_f64 v[38:39], v[62:63], v[130:131]
	v_mul_f64 v[40:41], v[60:61], v[130:131]
	v_fma_f64 v[18:19], v[68:69], v[148:149], -v[18:19]
	v_fma_f64 v[28:29], v[14:15], v[140:141], -v[28:29]
	s_waitcnt vmcnt(7)
	v_mul_f64 v[14:15], v[78:79], v[158:159]
	v_fma_f64 v[21:22], v[70:71], v[148:149], v[21:22]
	v_fma_f64 v[32:33], v[16:17], v[140:141], v[32:33]
	v_fma_f64 v[16:17], v[88:89], v[132:133], -v[34:35]
	v_fma_f64 v[34:35], v[90:91], v[132:133], v[36:37]
	v_fma_f64 v[36:37], v[60:61], v[128:129], -v[38:39]
	v_fma_f64 v[38:39], v[62:63], v[128:129], v[40:41]
	v_mul_f64 v[40:41], v[76:77], v[158:159]
	s_waitcnt vmcnt(6)
	v_mul_f64 v[42:43], v[58:59], v[154:155]
	v_mul_f64 v[60:61], v[56:57], v[154:155]
	s_waitcnt vmcnt(5) lgkmcnt(2)
	v_mul_f64 v[68:69], v[96:97], v[146:147]
	v_fma_f64 v[70:71], v[76:77], v[156:157], -v[14:15]
	s_waitcnt vmcnt(4)
	v_mul_f64 v[14:15], v[66:67], v[138:139]
	v_mul_f64 v[62:63], v[98:99], v[146:147]
	;; [unrolled: 1-line block ×3, first 2 shown]
	v_fma_f64 v[40:41], v[78:79], v[156:157], v[40:41]
	v_fma_f64 v[42:43], v[56:57], v[152:153], -v[42:43]
	v_fma_f64 v[78:79], v[58:59], v[152:153], v[60:61]
	v_fma_f64 v[90:91], v[98:99], v[144:145], v[68:69]
	s_waitcnt vmcnt(3)
	v_mul_f64 v[56:57], v[86:87], v[174:175]
	v_fma_f64 v[68:69], v[64:65], v[136:137], -v[14:15]
	v_mul_f64 v[14:15], v[84:85], v[174:175]
	s_waitcnt vmcnt(2)
	v_mul_f64 v[58:59], v[94:95], v[170:171]
	v_add_f64 v[60:61], v[6:7], v[18:19]
	v_add_f64 v[64:65], v[28:29], v[16:17]
	v_fma_f64 v[88:89], v[96:97], v[144:145], -v[62:63]
	v_fma_f64 v[96:97], v[66:67], v[136:137], v[76:77]
	v_fma_f64 v[98:99], v[84:85], v[172:173], -v[56:57]
	s_waitcnt vmcnt(1) lgkmcnt(1)
	v_mul_f64 v[56:57], v[102:103], v[166:167]
	v_mul_f64 v[66:67], v[100:101], v[166:167]
	v_fma_f64 v[108:109], v[86:87], v[172:173], v[14:15]
	v_fma_f64 v[110:111], v[92:93], v[168:169], -v[58:59]
	v_add_f64 v[14:15], v[60:61], v[28:29]
	v_fma_f64 v[58:59], v[64:65], -0.5, v[6:7]
	v_add_f64 v[60:61], v[21:22], -v[38:39]
	v_mul_f64 v[62:63], v[92:93], v[170:171]
	v_add_f64 v[76:77], v[18:19], v[36:37]
	v_fma_f64 v[100:101], v[100:101], v[164:165], -v[56:57]
	v_fma_f64 v[102:103], v[102:103], v[164:165], v[66:67]
	s_waitcnt vmcnt(0) lgkmcnt(0)
	v_mul_f64 v[56:57], v[106:107], v[162:163]
	v_add_f64 v[66:67], v[32:33], -v[34:35]
	v_add_f64 v[84:85], v[18:19], -v[28:29]
	v_fma_f64 v[64:65], v[60:61], s[2:3], v[58:59]
	v_fma_f64 v[94:95], v[94:95], v[168:169], v[62:63]
	v_mul_f64 v[62:63], v[104:105], v[162:163]
	v_add_f64 v[86:87], v[36:37], -v[16:17]
	v_fma_f64 v[6:7], v[76:77], -0.5, v[6:7]
	v_fma_f64 v[104:105], v[104:105], v[160:161], -v[56:57]
	v_add_f64 v[14:15], v[14:15], v[16:17]
	v_fma_f64 v[58:59], v[60:61], s[18:19], v[58:59]
	v_fma_f64 v[56:57], v[66:67], s[14:15], v[64:65]
	v_add_f64 v[64:65], v[8:9], v[21:22]
	v_fma_f64 v[106:107], v[106:107], v[160:161], v[62:63]
	v_add_f64 v[62:63], v[84:85], v[86:87]
	v_fma_f64 v[84:85], v[66:67], s[18:19], v[6:7]
	v_add_f64 v[86:87], v[28:29], -v[18:19]
	v_add_f64 v[92:93], v[16:17], -v[36:37]
	v_fma_f64 v[6:7], v[66:67], s[2:3], v[6:7]
	v_add_f64 v[76:77], v[32:33], v[34:35]
	v_add_f64 v[64:65], v[64:65], v[32:33]
	;; [unrolled: 1-line block ×4, first 2 shown]
	v_add_f64 v[18:19], v[18:19], -v[36:37]
	v_fma_f64 v[36:37], v[66:67], s[20:21], v[58:59]
	v_fma_f64 v[58:59], v[60:61], s[14:15], v[84:85]
	v_add_f64 v[66:67], v[86:87], v[92:93]
	v_fma_f64 v[84:85], v[60:61], s[20:21], v[6:7]
	v_fma_f64 v[76:77], v[76:77], -0.5, v[8:9]
	v_add_f64 v[86:87], v[64:65], v[34:35]
	v_add_f64 v[28:29], v[28:29], -v[16:17]
	v_fma_f64 v[8:9], v[112:113], -0.5, v[8:9]
	v_fma_f64 v[6:7], v[62:63], s[22:23], v[56:57]
	v_fma_f64 v[56:57], v[62:63], s[22:23], v[36:37]
	;; [unrolled: 1-line block ×4, first 2 shown]
	v_add_f64 v[66:67], v[10:11], v[70:71]
	v_fma_f64 v[92:93], v[18:19], s[18:19], v[76:77]
	v_add_f64 v[16:17], v[86:87], v[38:39]
	v_add_f64 v[58:59], v[21:22], -v[32:33]
	v_add_f64 v[62:63], v[38:39], -v[34:35]
	v_fma_f64 v[76:77], v[18:19], s[2:3], v[76:77]
	v_add_f64 v[84:85], v[42:43], v[88:89]
	v_fma_f64 v[86:87], v[28:29], s[2:3], v[8:9]
	v_add_f64 v[21:22], v[32:33], -v[21:22]
	v_add_f64 v[32:33], v[34:35], -v[38:39]
	v_fma_f64 v[8:9], v[28:29], s[18:19], v[8:9]
	v_add_f64 v[38:39], v[66:67], v[42:43]
	v_fma_f64 v[36:37], v[28:29], s[20:21], v[92:93]
	v_add_f64 v[34:35], v[58:59], v[62:63]
	v_fma_f64 v[28:29], v[28:29], s[14:15], v[76:77]
	v_fma_f64 v[76:77], v[84:85], -0.5, v[10:11]
	v_add_f64 v[84:85], v[40:41], -v[96:97]
	v_fma_f64 v[62:63], v[18:19], s[20:21], v[86:87]
	v_add_f64 v[21:22], v[21:22], v[32:33]
	v_fma_f64 v[18:19], v[18:19], s[14:15], v[8:9]
	v_add_f64 v[32:33], v[70:71], v[68:69]
	v_add_f64 v[38:39], v[38:39], v[88:89]
	v_fma_f64 v[8:9], v[34:35], s[22:23], v[36:37]
	v_fma_f64 v[58:59], v[34:35], s[22:23], v[28:29]
	;; [unrolled: 1-line block ×3, first 2 shown]
	v_add_f64 v[34:35], v[78:79], -v[90:91]
	v_fma_f64 v[62:63], v[21:22], s[22:23], v[62:63]
	v_fma_f64 v[66:67], v[21:22], s[22:23], v[18:19]
	v_fma_f64 v[18:19], v[32:33], -0.5, v[10:11]
	v_add_f64 v[21:22], v[70:71], -v[42:43]
	v_add_f64 v[32:33], v[68:69], -v[88:89]
	v_add_f64 v[10:11], v[38:39], v[68:69]
	v_fma_f64 v[36:37], v[84:85], s[18:19], v[76:77]
	v_add_f64 v[38:39], v[12:13], v[40:41]
	v_add_f64 v[76:77], v[78:79], v[90:91]
	v_fma_f64 v[28:29], v[34:35], s[14:15], v[28:29]
	v_fma_f64 v[86:87], v[34:35], s[18:19], v[18:19]
	v_add_f64 v[92:93], v[42:43], -v[70:71]
	v_add_f64 v[112:113], v[88:89], -v[68:69]
	v_add_f64 v[21:22], v[21:22], v[32:33]
	v_fma_f64 v[18:19], v[34:35], s[2:3], v[18:19]
	v_fma_f64 v[32:33], v[34:35], s[20:21], v[36:37]
	v_add_f64 v[34:35], v[38:39], v[78:79]
	v_fma_f64 v[36:37], v[76:77], -0.5, v[12:13]
	v_add_f64 v[38:39], v[70:71], -v[68:69]
	v_fma_f64 v[70:71], v[84:85], s[14:15], v[86:87]
	v_add_f64 v[86:87], v[92:93], v[112:113]
	v_fma_f64 v[68:69], v[21:22], s[22:23], v[28:29]
	v_fma_f64 v[18:19], v[84:85], s[20:21], v[18:19]
	v_add_f64 v[28:29], v[40:41], v[96:97]
	v_fma_f64 v[76:77], v[21:22], s[22:23], v[32:33]
	v_add_f64 v[21:22], v[34:35], v[90:91]
	v_fma_f64 v[32:33], v[38:39], s[18:19], v[36:37]
	v_add_f64 v[34:35], v[42:43], -v[88:89]
	v_add_f64 v[42:43], v[110:111], v[100:101]
	v_fma_f64 v[84:85], v[86:87], s[22:23], v[70:71]
	v_add_f64 v[70:71], v[40:41], -v[78:79]
	v_add_f64 v[92:93], v[96:97], -v[90:91]
	v_fma_f64 v[88:89], v[86:87], s[22:23], v[18:19]
	v_fma_f64 v[18:19], v[28:29], -0.5, v[12:13]
	v_add_f64 v[12:13], v[21:22], v[96:97]
	v_fma_f64 v[21:22], v[34:35], s[20:21], v[32:33]
	v_fma_f64 v[32:33], v[42:43], -0.5, v[72:73]
	v_add_f64 v[42:43], v[108:109], -v[106:107]
	v_add_f64 v[28:29], v[72:73], v[98:99]
	v_add_f64 v[86:87], v[70:71], v[92:93]
	v_add_f64 v[40:41], v[78:79], -v[40:41]
	v_fma_f64 v[70:71], v[34:35], s[2:3], v[18:19]
	v_add_f64 v[78:79], v[90:91], -v[96:97]
	v_fma_f64 v[18:19], v[34:35], s[18:19], v[18:19]
	v_fma_f64 v[36:37], v[38:39], s[2:3], v[36:37]
	;; [unrolled: 1-line block ×3, first 2 shown]
	v_add_f64 v[96:97], v[94:95], -v[102:103]
	v_add_f64 v[92:93], v[98:99], -v[110:111]
	;; [unrolled: 1-line block ×3, first 2 shown]
	v_add_f64 v[28:29], v[28:29], v[110:111]
	v_add_f64 v[40:41], v[40:41], v[78:79]
	v_fma_f64 v[18:19], v[38:39], s[14:15], v[18:19]
	v_fma_f64 v[34:35], v[34:35], s[14:15], v[36:37]
	v_add_f64 v[36:37], v[98:99], v[104:105]
	v_fma_f64 v[114:115], v[38:39], s[20:21], v[70:71]
	v_fma_f64 v[38:39], v[96:97], s[14:15], v[90:91]
	v_add_f64 v[112:113], v[92:93], v[112:113]
	v_add_f64 v[28:29], v[28:29], v[100:101]
	v_fma_f64 v[70:71], v[86:87], s[22:23], v[21:22]
	v_fma_f64 v[90:91], v[40:41], s[22:23], v[18:19]
	v_add_f64 v[18:19], v[94:95], v[102:103]
	v_fma_f64 v[21:22], v[36:37], -0.5, v[72:73]
	v_add_f64 v[36:37], v[108:109], v[106:107]
	v_fma_f64 v[78:79], v[86:87], s[22:23], v[34:35]
	v_fma_f64 v[86:87], v[40:41], s[22:23], v[114:115]
	;; [unrolled: 1-line block ×3, first 2 shown]
	v_add_f64 v[34:35], v[110:111], -v[98:99]
	v_add_f64 v[38:39], v[100:101], -v[104:105]
	v_add_f64 v[40:41], v[74:75], v[108:109]
	v_add_f64 v[72:73], v[28:29], v[104:105]
	v_fma_f64 v[28:29], v[42:43], s[18:19], v[32:33]
	v_fma_f64 v[18:19], v[18:19], -0.5, v[74:75]
	v_add_f64 v[98:99], v[98:99], -v[104:105]
	v_add_f64 v[100:101], v[110:111], -v[100:101]
	v_fma_f64 v[36:37], v[36:37], -0.5, v[74:75]
	v_add_f64 v[34:35], v[34:35], v[38:39]
	v_add_f64 v[38:39], v[40:41], v[94:95]
	v_fma_f64 v[32:33], v[96:97], s[18:19], v[21:22]
	v_fma_f64 v[28:29], v[96:97], s[20:21], v[28:29]
	;; [unrolled: 1-line block ×4, first 2 shown]
	v_add_f64 v[74:75], v[108:109], -v[94:95]
	v_add_f64 v[96:97], v[106:107], -v[102:103]
	v_fma_f64 v[104:105], v[100:101], s[2:3], v[36:37]
	v_add_f64 v[94:95], v[94:95], -v[108:109]
	v_add_f64 v[108:109], v[102:103], -v[106:107]
	v_fma_f64 v[36:37], v[100:101], s[18:19], v[36:37]
	v_fma_f64 v[18:19], v[98:99], s[2:3], v[18:19]
	v_add_f64 v[38:39], v[38:39], v[102:103]
	v_fma_f64 v[32:33], v[42:43], s[14:15], v[32:33]
	v_fma_f64 v[21:22], v[42:43], s[20:21], v[21:22]
	;; [unrolled: 1-line block ×3, first 2 shown]
	v_add_f64 v[42:43], v[74:75], v[96:97]
	v_fma_f64 v[102:103], v[98:99], s[20:21], v[104:105]
	v_add_f64 v[104:105], v[94:95], v[108:109]
	v_fma_f64 v[36:37], v[98:99], s[14:15], v[36:37]
	v_fma_f64 v[18:19], v[100:101], s[14:15], v[18:19]
	v_add_f64 v[74:75], v[38:39], v[106:107]
	v_fma_f64 v[96:97], v[34:35], s[22:23], v[32:33]
	v_fma_f64 v[100:101], v[34:35], s[22:23], v[21:22]
	;; [unrolled: 1-line block ×7, first 2 shown]
	v_add_lshl_u32 v28, v0, v3, 4
	v_mul_u32_u24_e32 v0, 0x78, v4
	v_add_lshl_u32 v29, v0, v5, 4
	ds_write_b128 v25, v[14:17]
	ds_write_b128 v25, v[6:9] offset:384
	ds_write_b128 v25, v[60:63] offset:768
	ds_write_b128 v25, v[64:67] offset:1152
	ds_write_b128 v25, v[56:59] offset:1536
	ds_write_b128 v28, v[10:13]
	ds_write_b128 v28, v[68:71] offset:384
	ds_write_b128 v28, v[84:87] offset:768
	ds_write_b128 v28, v[88:91] offset:1152
	ds_write_b128 v28, v[76:79] offset:1536
	;; [unrolled: 5-line block ×3, first 2 shown]
	s_waitcnt lgkmcnt(0)
	; wave barrier
	s_waitcnt lgkmcnt(0)
	ds_read_b128 v[200:203], v26
	ds_read_b128 v[196:199], v26 offset:896
	ds_read_b128 v[100:103], v26 offset:1920
	;; [unrolled: 1-line block ×13, first 2 shown]
	v_cmp_gt_u16_e64 s[2:3], 8, v27
	s_and_saveexec_b64 s[14:15], s[2:3]
	s_cbranch_execz .LBB0_17
; %bb.16:
	ds_read_b128 v[192:195], v26 offset:1792
	ds_read_b128 v[80:83], v26 offset:3712
	;; [unrolled: 1-line block ×7, first 2 shown]
.LBB0_17:
	s_or_b64 exec, exec, s[14:15]
	v_mov_b32_e32 v22, s5
	s_movk_i32 s14, 0x60
	v_mov_b32_e32 v21, s4
	v_mad_u64_u32 v[21:22], s[14:15], v27, s14, v[21:22]
	s_movk_i32 s14, 0x1500
	global_load_dwordx4 v[72:75], v[21:22], off offset:1936
	global_load_dwordx4 v[84:87], v[21:22], off offset:1920
	;; [unrolled: 1-line block ×6, first 2 shown]
	v_add_co_u32_e32 v21, vcc, s14, v21
	v_addc_co_u32_e32 v22, vcc, 0, v22, vcc
	s_mov_b32 s14, 0x37e14327
	s_mov_b32 s20, 0xe976ee23
	;; [unrolled: 1-line block ×18, first 2 shown]
	s_waitcnt vmcnt(2) lgkmcnt(11)
	v_mul_f64 v[32:33], v[102:103], v[98:99]
	v_fma_f64 v[226:227], v[100:101], v[96:97], -v[32:33]
	v_mul_f64 v[32:33], v[100:101], v[98:99]
	v_fma_f64 v[232:233], v[102:103], v[96:97], v[32:33]
	s_waitcnt lgkmcnt(9)
	v_mul_f64 v[32:33], v[94:95], v[90:91]
	v_fma_f64 v[228:229], v[92:93], v[88:89], -v[32:33]
	v_mul_f64 v[32:33], v[92:93], v[90:91]
	v_fma_f64 v[234:235], v[94:95], v[88:89], v[32:33]
	global_load_dwordx4 v[92:95], v[21:22], off offset:1936
	global_load_dwordx4 v[100:103], v[21:22], off offset:1920
	;; [unrolled: 1-line block ×4, first 2 shown]
	s_waitcnt lgkmcnt(7)
	v_mul_f64 v[32:33], v[78:79], v[86:87]
	v_fma_f64 v[230:231], v[76:77], v[84:85], -v[32:33]
	v_mul_f64 v[32:33], v[76:77], v[86:87]
	v_fma_f64 v[236:237], v[78:79], v[84:85], v[32:33]
	s_waitcnt lgkmcnt(5)
	v_mul_f64 v[32:33], v[70:71], v[74:75]
	v_fma_f64 v[238:239], v[68:69], v[72:73], -v[32:33]
	v_mul_f64 v[32:33], v[68:69], v[74:75]
	v_fma_f64 v[240:241], v[70:71], v[72:73], v[32:33]
	s_waitcnt vmcnt(4) lgkmcnt(3)
	v_mul_f64 v[32:33], v[18:19], v[114:115]
	v_fma_f64 v[242:243], v[16:17], v[112:113], -v[32:33]
	v_mul_f64 v[16:17], v[16:17], v[114:115]
	v_add_f64 v[40:41], v[228:229], v[242:243]
	v_fma_f64 v[244:245], v[18:19], v[112:113], v[16:17]
	s_waitcnt lgkmcnt(1)
	v_mul_f64 v[16:17], v[14:15], v[110:111]
	v_add_f64 v[42:43], v[234:235], v[244:245]
	v_fma_f64 v[246:247], v[12:13], v[108:109], -v[16:17]
	v_mul_f64 v[12:13], v[12:13], v[110:111]
	v_add_f64 v[36:37], v[226:227], -v[246:247]
	v_fma_f64 v[248:249], v[14:15], v[108:109], v[12:13]
	s_waitcnt vmcnt(2)
	v_mul_f64 v[32:33], v[56:57], v[102:103]
	s_waitcnt vmcnt(1)
	v_mul_f64 v[16:17], v[60:61], v[106:107]
	;; [unrolled: 2-line block ×3, first 2 shown]
	v_mul_f64 v[12:13], v[66:67], v[122:123]
	v_add_f64 v[38:39], v[232:233], -v[248:249]
	v_fma_f64 v[222:223], v[58:59], v[100:101], v[32:33]
	v_fma_f64 v[220:221], v[62:63], v[104:105], v[16:17]
	v_mul_f64 v[16:17], v[58:59], v[102:103]
	v_mul_f64 v[32:33], v[10:11], v[94:95]
	v_fma_f64 v[18:19], v[66:67], v[120:121], v[14:15]
	v_mul_f64 v[14:15], v[62:63], v[106:107]
	v_fma_f64 v[12:13], v[64:65], v[120:121], -v[12:13]
	v_fma_f64 v[16:17], v[56:57], v[100:101], -v[16:17]
	global_load_dwordx4 v[56:59], v[21:22], off offset:1968
	global_load_dwordx4 v[116:119], v[21:22], off offset:1952
	v_fma_f64 v[224:225], v[8:9], v[92:93], -v[32:33]
	v_mul_f64 v[8:9], v[8:9], v[94:95]
	v_fma_f64 v[14:15], v[60:61], v[104:105], -v[14:15]
	v_fma_f64 v[8:9], v[10:11], v[92:93], v[8:9]
	s_waitcnt vmcnt(0)
	v_mul_f64 v[10:11], v[6:7], v[118:119]
	v_fma_f64 v[10:11], v[4:5], v[116:117], -v[10:11]
	v_mul_f64 v[4:5], v[4:5], v[118:119]
	v_fma_f64 v[4:5], v[6:7], v[116:117], v[4:5]
	s_waitcnt lgkmcnt(0)
	v_mul_f64 v[6:7], v[2:3], v[58:59]
	v_fma_f64 v[6:7], v[0:1], v[56:57], -v[6:7]
	v_mul_f64 v[0:1], v[0:1], v[58:59]
	v_fma_f64 v[0:1], v[2:3], v[56:57], v[0:1]
	v_add_u32_e32 v2, -8, v27
	v_cndmask_b32_e64 v2, v2, v20, s[2:3]
	v_mul_hi_i32_i24_e32 v3, 0x60, v2
	v_mul_i32_i24_e32 v2, 0x60, v2
	v_add_co_u32_e32 v32, vcc, s4, v2
	v_mov_b32_e32 v2, s5
	v_addc_co_u32_e32 v33, vcc, v2, v3, vcc
	global_load_dwordx4 v[60:63], v[32:33], off offset:1936
	global_load_dwordx4 v[64:67], v[32:33], off offset:1920
	;; [unrolled: 1-line block ×4, first 2 shown]
	s_mov_b32 s4, 0x36b3c0b5
	s_mov_b32 s5, 0x3fac98ee
	s_waitcnt vmcnt(3)
	v_mul_f64 v[34:35], v[218:219], v[62:63]
	s_waitcnt vmcnt(2)
	v_mul_f64 v[22:23], v[214:215], v[66:67]
	;; [unrolled: 2-line block ×3, first 2 shown]
	v_mul_f64 v[2:3], v[82:83], v[78:79]
	v_fma_f64 v[252:253], v[212:213], v[64:65], -v[22:23]
	v_mul_f64 v[22:23], v[212:213], v[66:67]
	v_fma_f64 v[254:255], v[82:83], v[76:77], v[20:21]
	v_mul_f64 v[20:21], v[126:127], v[70:71]
	v_fma_f64 v[2:3], v[80:81], v[76:77], -v[2:3]
	v_fma_f64 v[212:213], v[216:217], v[60:61], -v[34:35]
	v_mul_f64 v[34:35], v[216:217], v[62:63]
	v_fma_f64 v[22:23], v[214:215], v[64:65], v[22:23]
	v_fma_f64 v[250:251], v[124:125], v[68:69], -v[20:21]
	v_mul_f64 v[20:21], v[124:125], v[70:71]
	v_fma_f64 v[214:215], v[218:219], v[60:61], v[34:35]
	v_add_f64 v[34:35], v[232:233], v[248:249]
	v_add_f64 v[218:219], v[234:235], -v[244:245]
	v_add_f64 v[232:233], v[240:241], -v[236:237]
	v_fma_f64 v[20:21], v[126:127], v[68:69], v[20:21]
	global_load_dwordx4 v[80:83], v[32:33], off offset:1968
	global_load_dwordx4 v[124:127], v[32:33], off offset:1952
	v_add_f64 v[244:245], v[232:233], v[218:219]
	v_add_f64 v[248:249], v[232:233], -v[218:219]
	v_add_f64 v[218:219], v[218:219], -v[38:39]
	;; [unrolled: 1-line block ×3, first 2 shown]
	v_add_f64 v[38:39], v[244:245], v[38:39]
	v_mul_f64 v[244:245], v[248:249], s[20:21]
	v_mul_f64 v[248:249], v[218:219], s[18:19]
	v_fma_f64 v[218:219], v[218:219], s[18:19], -v[244:245]
	v_fma_f64 v[218:219], v[38:39], s[26:27], v[218:219]
	s_waitcnt vmcnt(0)
	v_mul_f64 v[32:33], v[206:207], v[126:127]
	v_fma_f64 v[216:217], v[204:205], v[124:125], -v[32:33]
	v_mul_f64 v[32:33], v[204:205], v[126:127]
	v_fma_f64 v[204:205], v[206:207], v[124:125], v[32:33]
	v_mul_f64 v[32:33], v[210:211], v[82:83]
	v_fma_f64 v[206:207], v[208:209], v[80:81], -v[32:33]
	v_mul_f64 v[32:33], v[208:209], v[82:83]
	v_fma_f64 v[208:209], v[210:211], v[80:81], v[32:33]
	v_add_f64 v[32:33], v[226:227], v[246:247]
	v_add_f64 v[210:211], v[228:229], -v[242:243]
	v_add_f64 v[226:227], v[230:231], v[238:239]
	v_add_f64 v[228:229], v[236:237], v[240:241]
	v_add_f64 v[230:231], v[238:239], -v[230:231]
	v_add_f64 v[236:237], v[42:43], v[34:35]
	v_add_f64 v[240:241], v[42:43], -v[34:35]
	;; [unrolled: 2-line block ×3, first 2 shown]
	v_add_f64 v[32:33], v[32:33], -v[226:227]
	v_add_f64 v[34:35], v[34:35], -v[228:229]
	;; [unrolled: 1-line block ×4, first 2 shown]
	v_add_f64 v[242:243], v[230:231], v[210:211]
	v_add_f64 v[246:247], v[230:231], -v[210:211]
	v_add_f64 v[210:211], v[210:211], -v[36:37]
	v_add_f64 v[234:235], v[226:227], v[234:235]
	v_add_f64 v[236:237], v[228:229], v[236:237]
	v_add_f64 v[230:231], v[36:37], -v[230:231]
	v_mul_f64 v[32:33], v[32:33], s[14:15]
	v_mul_f64 v[34:35], v[34:35], s[14:15]
	v_add_f64 v[36:37], v[242:243], v[36:37]
	v_mul_f64 v[242:243], v[246:247], s[20:21]
	v_mul_f64 v[246:247], v[210:211], s[18:19]
	v_add_f64 v[226:227], v[200:201], v[234:235]
	v_add_f64 v[228:229], v[202:203], v[236:237]
	v_mul_f64 v[200:201], v[40:41], s[4:5]
	v_mul_f64 v[202:203], v[42:43], s[4:5]
	v_fma_f64 v[40:41], v[40:41], s[4:5], v[32:33]
	v_fma_f64 v[42:43], v[42:43], s[4:5], v[34:35]
	v_fma_f64 v[32:33], v[238:239], s[28:29], -v[32:33]
	v_fma_f64 v[34:35], v[240:241], s[28:29], -v[34:35]
	v_fma_f64 v[234:235], v[234:235], s[22:23], v[226:227]
	v_fma_f64 v[236:237], v[236:237], s[22:23], v[228:229]
	v_fma_f64 v[200:201], v[238:239], s[24:25], -v[200:201]
	v_fma_f64 v[202:203], v[240:241], s[24:25], -v[202:203]
	;; [unrolled: 4-line block ×3, first 2 shown]
	v_fma_f64 v[232:233], v[232:233], s[34:35], -v[248:249]
	v_add_f64 v[32:33], v[32:33], v[234:235]
	v_add_f64 v[34:35], v[34:35], v[236:237]
	;; [unrolled: 1-line block ×3, first 2 shown]
	v_fma_f64 v[44:45], v[36:37], s[26:27], v[238:239]
	v_fma_f64 v[46:47], v[38:39], s[26:27], v[240:241]
	;; [unrolled: 1-line block ×5, first 2 shown]
	v_add_f64 v[42:43], v[42:43], v[236:237]
	v_add_f64 v[200:201], v[200:201], v[234:235]
	;; [unrolled: 1-line block ×4, first 2 shown]
	v_add_f64 v[236:237], v[34:35], -v[36:37]
	v_add_f64 v[234:235], v[38:39], v[32:33]
	v_add_f64 v[246:247], v[32:33], -v[38:39]
	v_add_f64 v[248:249], v[36:37], v[34:35]
	v_add_f64 v[36:37], v[12:13], v[6:7]
	;; [unrolled: 1-line block ×3, first 2 shown]
	v_add_f64 v[6:7], v[12:13], -v[6:7]
	v_add_f64 v[0:1], v[18:19], -v[0:1]
	v_add_f64 v[12:13], v[14:15], v[10:11]
	v_add_f64 v[18:19], v[220:221], v[4:5]
	v_add_f64 v[232:233], v[42:43], -v[44:45]
	v_add_f64 v[32:33], v[40:41], -v[46:47]
	v_add_f64 v[34:35], v[44:45], v[42:43]
	v_add_f64 v[10:11], v[14:15], -v[10:11]
	v_add_f64 v[4:5], v[220:221], -v[4:5]
	v_add_f64 v[14:15], v[16:17], v[224:225]
	v_add_f64 v[40:41], v[222:223], v[8:9]
	v_add_f64 v[16:17], v[224:225], -v[16:17]
	v_add_f64 v[8:9], v[8:9], -v[222:223]
	v_add_f64 v[42:43], v[12:13], v[36:37]
	v_add_f64 v[44:45], v[18:19], v[38:39]
	v_add_f64 v[238:239], v[200:201], -v[218:219]
	v_add_f64 v[240:241], v[210:211], v[202:203]
	v_add_f64 v[242:243], v[218:219], v[200:201]
	v_add_f64 v[244:245], v[202:203], -v[210:211]
	v_add_f64 v[46:47], v[12:13], -v[36:37]
	;; [unrolled: 1-line block ×7, first 2 shown]
	v_add_f64 v[202:203], v[16:17], v[10:11]
	v_add_f64 v[218:219], v[16:17], -v[10:11]
	v_add_f64 v[220:221], v[8:9], -v[4:5]
	;; [unrolled: 1-line block ×3, first 2 shown]
	v_add_f64 v[14:15], v[14:15], v[42:43]
	v_add_f64 v[40:41], v[40:41], v[44:45]
	;; [unrolled: 1-line block ×3, first 2 shown]
	v_add_f64 v[16:17], v[6:7], -v[16:17]
	v_add_f64 v[8:9], v[0:1], -v[8:9]
	;; [unrolled: 1-line block ×3, first 2 shown]
	v_add_f64 v[42:43], v[202:203], v[6:7]
	v_mul_f64 v[36:37], v[36:37], s[14:15]
	v_add_f64 v[4:5], v[196:197], v[14:15]
	v_add_f64 v[6:7], v[198:199], v[40:41]
	v_mul_f64 v[38:39], v[38:39], s[14:15]
	v_mul_f64 v[44:45], v[12:13], s[4:5]
	;; [unrolled: 1-line block ×6, first 2 shown]
	v_add_f64 v[0:1], v[210:211], v[0:1]
	v_mul_f64 v[210:211], v[10:11], s[18:19]
	v_fma_f64 v[14:15], v[14:15], s[22:23], v[4:5]
	v_fma_f64 v[40:41], v[40:41], s[22:23], v[6:7]
	;; [unrolled: 1-line block ×4, first 2 shown]
	v_fma_f64 v[44:45], v[46:47], s[24:25], -v[44:45]
	v_fma_f64 v[196:197], v[200:201], s[24:25], -v[196:197]
	;; [unrolled: 1-line block ×4, first 2 shown]
	v_fma_f64 v[46:47], v[16:17], s[30:31], v[198:199]
	v_fma_f64 v[200:201], v[8:9], s[30:31], v[202:203]
	v_fma_f64 v[10:11], v[10:11], s[18:19], -v[198:199]
	v_fma_f64 v[198:199], v[222:223], s[18:19], -v[202:203]
	;; [unrolled: 1-line block ×4, first 2 shown]
	v_add_f64 v[210:211], v[18:19], v[40:41]
	v_add_f64 v[44:45], v[44:45], v[14:15]
	;; [unrolled: 1-line block ×5, first 2 shown]
	v_fma_f64 v[40:41], v[0:1], s[26:27], v[200:201]
	v_fma_f64 v[200:201], v[42:43], s[26:27], v[10:11]
	;; [unrolled: 1-line block ×4, first 2 shown]
	v_add_f64 v[202:203], v[12:13], v[14:15]
	v_fma_f64 v[46:47], v[42:43], s[26:27], v[46:47]
	v_fma_f64 v[42:43], v[42:43], s[26:27], v[16:17]
	v_add_f64 v[18:19], v[200:201], v[196:197]
	v_add_f64 v[16:17], v[44:45], -v[198:199]
	v_add_f64 v[12:13], v[0:1], v[36:37]
	v_add_f64 v[220:221], v[198:199], v[44:45]
	v_add_f64 v[222:223], v[196:197], -v[200:201]
	v_add_f64 v[36:37], v[36:37], -v[0:1]
	v_add_f64 v[0:1], v[2:3], v[206:207]
	v_add_f64 v[44:45], v[254:255], v[208:209]
	;; [unrolled: 1-line block ×5, first 2 shown]
	v_add_f64 v[10:11], v[210:211], -v[46:47]
	v_add_f64 v[14:15], v[38:39], -v[42:43]
	v_add_f64 v[38:39], v[42:43], v[38:39]
	v_add_f64 v[40:41], v[202:203], -v[40:41]
	v_add_f64 v[42:43], v[46:47], v[210:211]
	v_add_f64 v[2:3], v[2:3], -v[206:207]
	v_add_f64 v[46:47], v[254:255], -v[208:209]
	v_add_f64 v[200:201], v[250:251], -v[216:217]
	v_add_f64 v[20:21], v[20:21], -v[204:205]
	v_add_f64 v[202:203], v[252:253], v[212:213]
	v_add_f64 v[204:205], v[22:23], v[214:215]
	v_add_f64 v[206:207], v[212:213], -v[252:253]
	v_add_f64 v[22:23], v[214:215], -v[22:23]
	v_add_f64 v[208:209], v[196:197], v[0:1]
	v_add_f64 v[210:211], v[198:199], v[44:45]
	v_add_f64 v[216:217], v[196:197], -v[0:1]
	v_add_f64 v[218:219], v[198:199], -v[44:45]
	;; [unrolled: 1-line block ×6, first 2 shown]
	v_add_f64 v[212:213], v[206:207], v[200:201]
	v_add_f64 v[214:215], v[22:23], v[20:21]
	v_add_f64 v[224:225], v[206:207], -v[200:201]
	v_add_f64 v[250:251], v[22:23], -v[20:21]
	;; [unrolled: 1-line block ×4, first 2 shown]
	v_add_f64 v[202:203], v[202:203], v[208:209]
	v_add_f64 v[204:205], v[204:205], v[210:211]
	v_add_f64 v[206:207], v[2:3], -v[206:207]
	v_add_f64 v[22:23], v[46:47], -v[22:23]
	v_add_f64 v[2:3], v[212:213], v[2:3]
	v_add_f64 v[46:47], v[214:215], v[46:47]
	v_mul_f64 v[0:1], v[0:1], s[14:15]
	v_mul_f64 v[44:45], v[44:45], s[14:15]
	v_add_f64 v[212:213], v[192:193], v[202:203]
	v_add_f64 v[214:215], v[194:195], v[204:205]
	v_mul_f64 v[192:193], v[196:197], s[4:5]
	v_mul_f64 v[194:195], v[198:199], s[4:5]
	;; [unrolled: 1-line block ×6, first 2 shown]
	v_fma_f64 v[202:203], v[202:203], s[22:23], v[212:213]
	v_fma_f64 v[204:205], v[204:205], s[22:23], v[214:215]
	;; [unrolled: 1-line block ×4, first 2 shown]
	v_fma_f64 v[192:193], v[216:217], s[24:25], -v[192:193]
	v_fma_f64 v[194:195], v[218:219], s[24:25], -v[194:195]
	;; [unrolled: 1-line block ×4, first 2 shown]
	v_fma_f64 v[216:217], v[206:207], s[30:31], v[208:209]
	v_fma_f64 v[218:219], v[22:23], s[30:31], v[210:211]
	v_fma_f64 v[200:201], v[200:201], s[18:19], -v[208:209]
	v_fma_f64 v[20:21], v[20:21], s[18:19], -v[210:211]
	;; [unrolled: 1-line block ×4, first 2 shown]
	v_add_f64 v[208:209], v[196:197], v[202:203]
	v_add_f64 v[210:211], v[198:199], v[204:205]
	;; [unrolled: 1-line block ×6, first 2 shown]
	v_fma_f64 v[252:253], v[2:3], s[26:27], v[216:217]
	v_fma_f64 v[254:255], v[46:47], s[26:27], v[218:219]
	;; [unrolled: 1-line block ×6, first 2 shown]
	ds_write_b128 v26, v[226:229]
	ds_write_b128 v26, v[230:233] offset:1920
	ds_write_b128 v26, v[234:237] offset:3840
	;; [unrolled: 1-line block ×13, first 2 shown]
	v_add_f64 v[218:219], v[210:211], -v[252:253]
	v_add_f64 v[216:217], v[254:255], v[208:209]
	v_add_f64 v[198:199], v[202:203], v[250:251]
	v_add_f64 v[196:197], v[224:225], -v[20:21]
	v_add_f64 v[194:195], v[44:45], -v[2:3]
	v_add_f64 v[192:193], v[22:23], v[0:1]
	v_add_f64 v[200:201], v[20:21], v[224:225]
	v_add_f64 v[202:203], v[250:251], -v[202:203]
	v_add_f64 v[204:205], v[0:1], -v[22:23]
	v_add_f64 v[206:207], v[2:3], v[44:45]
	v_add_f64 v[208:209], v[208:209], -v[254:255]
	v_add_f64 v[210:211], v[252:253], v[210:211]
	s_and_saveexec_b64 s[4:5], s[2:3]
	s_cbranch_execz .LBB0_19
; %bb.18:
	ds_write_b128 v26, v[212:215] offset:1792
	ds_write_b128 v26, v[216:219] offset:3712
	;; [unrolled: 1-line block ×7, first 2 shown]
.LBB0_19:
	s_or_b64 exec, exec, s[4:5]
	v_mov_b32_e32 v0, s17
	v_addc_co_u32_e64 v4, vcc, 0, v0, s[6:7]
	s_movk_i32 s4, 0x3480
	v_add_co_u32_e32 v0, vcc, s4, v24
	v_addc_co_u32_e32 v1, vcc, 0, v4, vcc
	s_movk_i32 s6, 0x3000
	v_add_co_u32_e32 v2, vcc, s6, v24
	v_addc_co_u32_e32 v3, vcc, 0, v4, vcc
	s_waitcnt lgkmcnt(0)
	; wave barrier
	s_waitcnt lgkmcnt(0)
	global_load_dwordx4 v[9:12], v[2:3], off offset:1152
	ds_read_b128 v[5:8], v26
	s_movk_i32 s4, 0x4000
	s_waitcnt vmcnt(0) lgkmcnt(0)
	v_mul_f64 v[2:3], v[7:8], v[11:12]
	v_fma_f64 v[13:14], v[5:6], v[9:10], -v[2:3]
	v_mul_f64 v[2:3], v[5:6], v[11:12]
	v_fma_f64 v[15:16], v[7:8], v[9:10], v[2:3]
	v_add_co_u32_e32 v2, vcc, s4, v24
	v_addc_co_u32_e32 v3, vcc, 0, v4, vcc
	global_load_dwordx4 v[9:12], v[2:3], off offset:3776
	ds_read_b128 v[5:8], v26 offset:6720
	s_movk_i32 s4, 0x5000
	ds_write_b128 v26, v[13:16]
	v_add_co_u32_e32 v17, vcc, s4, v24
	v_addc_co_u32_e32 v18, vcc, 0, v4, vcc
	s_movk_i32 s4, 0x6000
	s_waitcnt vmcnt(0) lgkmcnt(1)
	v_mul_f64 v[13:14], v[7:8], v[11:12]
	v_fma_f64 v[13:14], v[5:6], v[9:10], -v[13:14]
	v_mul_f64 v[5:6], v[5:6], v[11:12]
	v_fma_f64 v[15:16], v[7:8], v[9:10], v[5:6]
	global_load_dwordx4 v[9:12], v[0:1], off offset:896
	ds_read_b128 v[5:8], v26 offset:896
	ds_write_b128 v26, v[13:16] offset:6720
	s_waitcnt vmcnt(0) lgkmcnt(1)
	v_mul_f64 v[13:14], v[7:8], v[11:12]
	v_fma_f64 v[13:14], v[5:6], v[9:10], -v[13:14]
	v_mul_f64 v[5:6], v[5:6], v[11:12]
	v_fma_f64 v[15:16], v[7:8], v[9:10], v[5:6]
	global_load_dwordx4 v[9:12], v[17:18], off offset:576
	ds_read_b128 v[5:8], v26 offset:7616
	ds_write_b128 v26, v[13:16] offset:896
	;; [unrolled: 8-line block ×7, first 2 shown]
	s_waitcnt vmcnt(0) lgkmcnt(1)
	v_mul_f64 v[13:14], v[7:8], v[11:12]
	v_fma_f64 v[13:14], v[5:6], v[9:10], -v[13:14]
	v_mul_f64 v[5:6], v[5:6], v[11:12]
	v_fma_f64 v[15:16], v[7:8], v[9:10], v[5:6]
	global_load_dwordx4 v[9:12], v[17:18], off offset:3264
	ds_read_b128 v[5:8], v26 offset:10304
	v_add_co_u32_e32 v17, vcc, s4, v24
	v_addc_co_u32_e32 v18, vcc, 0, v4, vcc
	ds_write_b128 v26, v[13:16] offset:3584
	s_waitcnt vmcnt(0) lgkmcnt(1)
	v_mul_f64 v[13:14], v[7:8], v[11:12]
	v_fma_f64 v[13:14], v[5:6], v[9:10], -v[13:14]
	v_mul_f64 v[5:6], v[5:6], v[11:12]
	v_fma_f64 v[15:16], v[7:8], v[9:10], v[5:6]
	global_load_dwordx4 v[9:12], v[2:3], off offset:1536
	ds_read_b128 v[5:8], v26 offset:4480
	ds_write_b128 v26, v[13:16] offset:10304
	s_waitcnt vmcnt(0) lgkmcnt(1)
	v_mul_f64 v[13:14], v[7:8], v[11:12]
	v_fma_f64 v[13:14], v[5:6], v[9:10], -v[13:14]
	v_mul_f64 v[5:6], v[5:6], v[11:12]
	v_fma_f64 v[15:16], v[7:8], v[9:10], v[5:6]
	global_load_dwordx4 v[9:12], v[17:18], off offset:64
	ds_read_b128 v[5:8], v26 offset:11200
	;; [unrolled: 8-line block ×3, first 2 shown]
	ds_write_b128 v26, v[13:16] offset:11200
	s_waitcnt vmcnt(0) lgkmcnt(1)
	v_mul_f64 v[2:3], v[6:7], v[10:11]
	v_fma_f64 v[2:3], v[4:5], v[8:9], -v[2:3]
	v_mul_f64 v[4:5], v[4:5], v[10:11]
	v_fma_f64 v[4:5], v[6:7], v[8:9], v[4:5]
	global_load_dwordx4 v[6:9], v[17:18], off offset:960
	ds_write_b128 v26, v[2:5] offset:5376
	ds_read_b128 v[2:5], v26 offset:12096
	s_waitcnt vmcnt(0) lgkmcnt(0)
	v_mul_f64 v[10:11], v[4:5], v[8:9]
	v_fma_f64 v[10:11], v[2:3], v[6:7], -v[10:11]
	v_mul_f64 v[2:3], v[2:3], v[8:9]
	v_fma_f64 v[12:13], v[4:5], v[6:7], v[2:3]
	ds_write_b128 v26, v[10:13] offset:12096
	s_and_saveexec_b64 s[4:5], s[0:1]
	s_cbranch_execz .LBB0_21
; %bb.20:
	v_add_co_u32_e32 v6, vcc, 0x1000, v0
	v_addc_co_u32_e32 v7, vcc, 0, v1, vcc
	global_load_dwordx4 v[6:9], v[6:7], off offset:2176
	ds_read_b128 v[2:5], v26 offset:6272
	v_add_co_u32_e32 v0, vcc, s6, v0
	v_addc_co_u32_e32 v1, vcc, 0, v1, vcc
	s_waitcnt vmcnt(0) lgkmcnt(0)
	v_mul_f64 v[10:11], v[4:5], v[8:9]
	v_fma_f64 v[10:11], v[2:3], v[6:7], -v[10:11]
	v_mul_f64 v[2:3], v[2:3], v[8:9]
	v_fma_f64 v[12:13], v[4:5], v[6:7], v[2:3]
	global_load_dwordx4 v[6:9], v[0:1], off offset:704
	ds_read_b128 v[2:5], v26 offset:12992
	ds_write_b128 v26, v[10:13] offset:6272
	s_waitcnt vmcnt(0) lgkmcnt(1)
	v_mul_f64 v[0:1], v[4:5], v[8:9]
	v_fma_f64 v[0:1], v[2:3], v[6:7], -v[0:1]
	v_mul_f64 v[2:3], v[2:3], v[8:9]
	v_fma_f64 v[2:3], v[4:5], v[6:7], v[2:3]
	ds_write_b128 v26, v[0:3] offset:12992
.LBB0_21:
	s_or_b64 exec, exec, s[4:5]
	s_waitcnt lgkmcnt(0)
	; wave barrier
	s_waitcnt lgkmcnt(0)
	ds_read_b128 v[248:251], v26
	ds_read_b128 v[252:255], v26 offset:896
	ds_read_b128 v[12:15], v26 offset:7616
	;; [unrolled: 1-line block ×13, first 2 shown]
	s_and_saveexec_b64 s[4:5], s[0:1]
	s_cbranch_execz .LBB0_23
; %bb.22:
	ds_read_b128 v[212:215], v26 offset:6272
	ds_read_b128 v[216:219], v26 offset:12992
.LBB0_23:
	s_or_b64 exec, exec, s[4:5]
	s_waitcnt lgkmcnt(3)
	v_add_f64 v[16:17], v[248:249], -v[16:17]
	v_add_f64 v[18:19], v[250:251], -v[18:19]
	v_lshlrev_b32_e32 v44, 5, v27
	s_waitcnt lgkmcnt(0)
	; wave barrier
	s_waitcnt lgkmcnt(0)
	v_add_f64 v[12:13], v[252:253], -v[12:13]
	v_add_f64 v[14:15], v[254:255], -v[14:15]
	;; [unrolled: 1-line block ×3, first 2 shown]
	v_fma_f64 v[20:21], v[248:249], 2.0, -v[16:17]
	v_fma_f64 v[22:23], v[250:251], 2.0, -v[18:19]
	v_add_f64 v[10:11], v[2:3], -v[10:11]
	v_add_f64 v[4:5], v[244:245], -v[4:5]
	;; [unrolled: 1-line block ×3, first 2 shown]
	v_fma_f64 v[32:33], v[252:253], 2.0, -v[12:13]
	v_fma_f64 v[34:35], v[254:255], 2.0, -v[14:15]
	v_fma_f64 v[0:1], v[0:1], 2.0, -v[8:9]
	ds_write_b128 v44, v[20:23]
	ds_write_b128 v44, v[16:19] offset:16
	buffer_load_dword v16, off, s[36:39], 0 offset:264 ; 4-byte Folded Reload
	v_fma_f64 v[2:3], v[2:3], 2.0, -v[10:11]
	v_fma_f64 v[36:37], v[244:245], 2.0, -v[4:5]
	;; [unrolled: 1-line block ×3, first 2 shown]
	v_add_f64 v[40:41], v[224:225], -v[240:241]
	v_add_f64 v[42:43], v[226:227], -v[242:243]
	;; [unrolled: 1-line block ×8, first 2 shown]
	v_fma_f64 v[224:225], v[224:225], 2.0, -v[40:41]
	v_fma_f64 v[226:227], v[226:227], 2.0, -v[42:43]
	v_fma_f64 v[220:221], v[220:221], 2.0, -v[236:237]
	v_fma_f64 v[222:223], v[222:223], 2.0, -v[238:239]
	v_fma_f64 v[228:229], v[228:229], 2.0, -v[232:233]
	v_fma_f64 v[230:231], v[230:231], 2.0, -v[234:235]
	v_fma_f64 v[212:213], v[212:213], 2.0, -v[216:217]
	v_fma_f64 v[214:215], v[214:215], 2.0, -v[218:219]
	s_waitcnt vmcnt(0)
	ds_write_b128 v16, v[32:35]
	ds_write_b128 v16, v[12:15] offset:16
	buffer_load_dword v12, off, s[36:39], 0 offset:268 ; 4-byte Folded Reload
	s_waitcnt vmcnt(0)
	ds_write_b128 v12, v[0:3]
	ds_write_b128 v12, v[8:11] offset:16
	buffer_load_dword v0, off, s[36:39], 0 offset:272 ; 4-byte Folded Reload
	;; [unrolled: 4-line block ×5, first 2 shown]
	s_waitcnt vmcnt(0)
	ds_write_b128 v0, v[228:231]
	ds_write_b128 v0, v[232:235] offset:16
	s_and_saveexec_b64 s[4:5], s[0:1]
	s_cbranch_execz .LBB0_25
; %bb.24:
	buffer_load_dword v0, off, s[36:39], 0 offset:308 ; 4-byte Folded Reload
	s_waitcnt vmcnt(0)
	ds_write_b128 v0, v[212:215]
	ds_write_b128 v0, v[216:219] offset:16
.LBB0_25:
	s_or_b64 exec, exec, s[4:5]
	s_waitcnt lgkmcnt(0)
	; wave barrier
	s_waitcnt lgkmcnt(0)
	ds_read_b128 v[244:247], v26
	ds_read_b128 v[240:243], v26 offset:896
	ds_read_b128 v[12:15], v26 offset:7616
	ds_read_b128 v[8:11], v26 offset:8512
	ds_read_b128 v[236:239], v26 offset:1792
	ds_read_b128 v[232:235], v26 offset:2688
	ds_read_b128 v[4:7], v26 offset:9408
	ds_read_b128 v[0:3], v26 offset:10304
	ds_read_b128 v[228:231], v26 offset:3584
	ds_read_b128 v[224:227], v26 offset:4480
	ds_read_b128 v[16:19], v26 offset:6720
	ds_read_b128 v[220:223], v26 offset:5376
	ds_read_b128 v[252:255], v26 offset:11200
	ds_read_b128 v[248:251], v26 offset:12096
	s_and_saveexec_b64 s[4:5], s[0:1]
	s_cbranch_execz .LBB0_27
; %bb.26:
	ds_read_b128 v[212:215], v26 offset:6272
	ds_read_b128 v[216:219], v26 offset:12992
.LBB0_27:
	s_or_b64 exec, exec, s[4:5]
	s_waitcnt lgkmcnt(3)
	v_mul_f64 v[20:21], v[178:179], v[18:19]
	s_waitcnt lgkmcnt(0)
	; wave barrier
	s_waitcnt lgkmcnt(0)
	v_fma_f64 v[20:21], v[176:177], v[16:17], v[20:21]
	v_mul_f64 v[16:17], v[178:179], v[16:17]
	v_fma_f64 v[16:17], v[176:177], v[18:19], -v[16:17]
	v_mul_f64 v[18:19], v[178:179], v[14:15]
	v_fma_f64 v[18:19], v[176:177], v[12:13], v[18:19]
	v_mul_f64 v[12:13], v[178:179], v[12:13]
	v_fma_f64 v[12:13], v[176:177], v[14:15], -v[12:13]
	v_mul_f64 v[14:15], v[178:179], v[10:11]
	;; [unrolled: 4-line block ×3, first 2 shown]
	v_add_f64 v[10:11], v[242:243], -v[12:13]
	v_fma_f64 v[34:35], v[176:177], v[4:5], v[8:9]
	v_mul_f64 v[4:5], v[178:179], v[4:5]
	v_add_f64 v[8:9], v[240:241], -v[18:19]
	v_fma_f64 v[14:15], v[242:243], 2.0, -v[10:11]
	v_add_f64 v[18:19], v[238:239], -v[32:33]
	v_add_f64 v[32:33], v[232:233], -v[34:35]
	v_fma_f64 v[36:37], v[176:177], v[6:7], -v[4:5]
	v_mul_f64 v[4:5], v[178:179], v[2:3]
	v_fma_f64 v[12:13], v[240:241], 2.0, -v[8:9]
	v_add_f64 v[34:35], v[234:235], -v[36:37]
	v_fma_f64 v[40:41], v[176:177], v[0:1], v[4:5]
	v_mul_f64 v[0:1], v[178:179], v[0:1]
	v_fma_f64 v[36:37], v[232:233], 2.0, -v[32:33]
	v_fma_f64 v[38:39], v[234:235], 2.0, -v[34:35]
	v_add_f64 v[40:41], v[228:229], -v[40:41]
	v_fma_f64 v[42:43], v[176:177], v[2:3], -v[0:1]
	v_mul_f64 v[0:1], v[178:179], v[254:255]
	v_add_f64 v[2:3], v[246:247], -v[16:17]
	v_add_f64 v[16:17], v[236:237], -v[22:23]
	v_fma_f64 v[22:23], v[238:239], 2.0, -v[18:19]
	v_add_f64 v[42:43], v[230:231], -v[42:43]
	v_fma_f64 v[44:45], v[176:177], v[252:253], v[0:1]
	v_mul_f64 v[0:1], v[178:179], v[252:253]
	v_fma_f64 v[6:7], v[246:247], 2.0, -v[2:3]
	v_fma_f64 v[46:47], v[176:177], v[254:255], -v[0:1]
	v_mul_f64 v[0:1], v[178:179], v[250:251]
	v_fma_f64 v[252:253], v[176:177], v[248:249], v[0:1]
	v_mul_f64 v[0:1], v[178:179], v[248:249]
	v_add_f64 v[232:233], v[220:221], -v[252:253]
	v_fma_f64 v[248:249], v[176:177], v[250:251], -v[0:1]
	v_mul_f64 v[0:1], v[178:179], v[218:219]
	v_fma_f64 v[220:221], v[220:221], 2.0, -v[232:233]
	v_add_f64 v[234:235], v[222:223], -v[248:249]
	v_fma_f64 v[250:251], v[176:177], v[216:217], v[0:1]
	v_mul_f64 v[0:1], v[178:179], v[216:217]
	v_fma_f64 v[178:179], v[230:231], 2.0, -v[42:43]
	v_add_f64 v[230:231], v[226:227], -v[46:47]
	v_fma_f64 v[222:223], v[222:223], 2.0, -v[234:235]
	v_add_f64 v[216:217], v[212:213], -v[250:251]
	v_fma_f64 v[218:219], v[176:177], v[218:219], -v[0:1]
	v_fma_f64 v[176:177], v[228:229], 2.0, -v[40:41]
	v_add_f64 v[228:229], v[224:225], -v[44:45]
	buffer_load_dword v44, off, s[36:39], 0 offset:284 ; 4-byte Folded Reload
	v_add_f64 v[0:1], v[244:245], -v[20:21]
	v_fma_f64 v[20:21], v[236:237], 2.0, -v[16:17]
	v_fma_f64 v[226:227], v[226:227], 2.0, -v[230:231]
	;; [unrolled: 1-line block ×3, first 2 shown]
	v_add_f64 v[218:219], v[214:215], -v[218:219]
	v_fma_f64 v[224:225], v[224:225], 2.0, -v[228:229]
	v_fma_f64 v[4:5], v[244:245], 2.0, -v[0:1]
	s_waitcnt vmcnt(0)
	ds_write_b128 v44, v[4:7]
	ds_write_b128 v44, v[0:3] offset:32
	buffer_load_dword v0, off, s[36:39], 0 offset:260 ; 4-byte Folded Reload
	v_fma_f64 v[214:215], v[214:215], 2.0, -v[218:219]
	s_waitcnt vmcnt(0)
	ds_write_b128 v0, v[12:15]
	ds_write_b128 v0, v[8:11] offset:32
	buffer_load_dword v0, off, s[36:39], 0 offset:252 ; 4-byte Folded Reload
	s_waitcnt vmcnt(0)
	ds_write_b128 v0, v[20:23]
	ds_write_b128 v0, v[16:19] offset:32
	buffer_load_dword v0, off, s[36:39], 0 offset:244 ; 4-byte Folded Reload
	;; [unrolled: 4-line block ×5, first 2 shown]
	s_waitcnt vmcnt(0)
	ds_write_b128 v0, v[220:223]
	ds_write_b128 v0, v[232:235] offset:32
	s_and_saveexec_b64 s[4:5], s[0:1]
	s_cbranch_execz .LBB0_29
; %bb.28:
	buffer_load_dword v0, off, s[36:39], 0  ; 4-byte Folded Reload
	s_movk_i32 s6, 0x37c
	s_waitcnt vmcnt(0)
	v_and_or_b32 v0, v0, s6, v31
	v_lshlrev_b32_e32 v0, 4, v0
	ds_write_b128 v0, v[212:215]
	ds_write_b128 v0, v[216:219] offset:32
.LBB0_29:
	s_or_b64 exec, exec, s[4:5]
	s_waitcnt lgkmcnt(0)
	; wave barrier
	s_waitcnt lgkmcnt(0)
	ds_read_b128 v[240:243], v26
	ds_read_b128 v[236:239], v26 offset:896
	ds_read_b128 v[8:11], v26 offset:7616
	;; [unrolled: 1-line block ×13, first 2 shown]
	s_and_saveexec_b64 s[4:5], s[0:1]
	s_cbranch_execz .LBB0_31
; %bb.30:
	ds_read_b128 v[212:215], v26 offset:6272
	ds_read_b128 v[216:219], v26 offset:12992
.LBB0_31:
	s_or_b64 exec, exec, s[4:5]
	s_waitcnt lgkmcnt(3)
	v_mul_f64 v[16:17], v[190:191], v[14:15]
	s_waitcnt lgkmcnt(0)
	; wave barrier
	s_waitcnt lgkmcnt(0)
	v_fma_f64 v[16:17], v[188:189], v[12:13], v[16:17]
	v_mul_f64 v[12:13], v[190:191], v[12:13]
	v_fma_f64 v[12:13], v[188:189], v[14:15], -v[12:13]
	v_mul_f64 v[14:15], v[190:191], v[10:11]
	v_fma_f64 v[14:15], v[188:189], v[8:9], v[14:15]
	v_mul_f64 v[8:9], v[190:191], v[8:9]
	v_fma_f64 v[10:11], v[188:189], v[10:11], -v[8:9]
	v_mul_f64 v[8:9], v[190:191], v[254:255]
	v_add_f64 v[10:11], v[238:239], -v[10:11]
	v_fma_f64 v[18:19], v[188:189], v[252:253], v[8:9]
	v_mul_f64 v[8:9], v[190:191], v[252:253]
	v_fma_f64 v[20:21], v[188:189], v[254:255], -v[8:9]
	v_mul_f64 v[8:9], v[190:191], v[250:251]
	v_fma_f64 v[31:32], v[188:189], v[248:249], v[8:9]
	v_mul_f64 v[8:9], v[190:191], v[248:249]
	v_add_f64 v[31:32], v[228:229], -v[31:32]
	v_fma_f64 v[33:34], v[188:189], v[250:251], -v[8:9]
	v_mul_f64 v[8:9], v[190:191], v[6:7]
	v_fma_f64 v[35:36], v[228:229], 2.0, -v[31:32]
	v_add_f64 v[33:34], v[230:231], -v[33:34]
	v_fma_f64 v[39:40], v[188:189], v[4:5], v[8:9]
	v_mul_f64 v[4:5], v[190:191], v[4:5]
	v_add_f64 v[8:9], v[236:237], -v[14:15]
	v_fma_f64 v[14:15], v[238:239], 2.0, -v[10:11]
	v_fma_f64 v[37:38], v[230:231], 2.0, -v[33:34]
	v_add_f64 v[39:40], v[224:225], -v[39:40]
	v_fma_f64 v[41:42], v[188:189], v[6:7], -v[4:5]
	v_mul_f64 v[4:5], v[190:191], v[2:3]
	v_add_f64 v[41:42], v[226:227], -v[41:42]
	v_fma_f64 v[43:44], v[188:189], v[0:1], v[4:5]
	v_mul_f64 v[0:1], v[190:191], v[0:1]
	v_fma_f64 v[45:46], v[188:189], v[2:3], -v[0:1]
	v_mul_f64 v[0:1], v[190:191], v[246:247]
	v_add_f64 v[2:3], v[242:243], -v[12:13]
	v_fma_f64 v[12:13], v[236:237], 2.0, -v[8:9]
	v_fma_f64 v[248:249], v[188:189], v[244:245], v[0:1]
	v_mul_f64 v[0:1], v[190:191], v[244:245]
	v_fma_f64 v[6:7], v[242:243], 2.0, -v[2:3]
	v_fma_f64 v[244:245], v[188:189], v[246:247], -v[0:1]
	v_mul_f64 v[0:1], v[190:191], v[218:219]
	v_fma_f64 v[246:247], v[188:189], v[216:217], v[0:1]
	v_mul_f64 v[0:1], v[190:191], v[216:217]
	v_add_f64 v[216:217], v[220:221], -v[43:44]
	buffer_load_dword v43, off, s[36:39], 0 offset:304 ; 4-byte Folded Reload
	v_fma_f64 v[190:191], v[226:227], 2.0, -v[41:42]
	v_add_f64 v[226:227], v[178:179], -v[244:245]
	v_fma_f64 v[250:251], v[188:189], v[218:219], -v[0:1]
	v_add_f64 v[0:1], v[240:241], -v[16:17]
	v_add_f64 v[16:17], v[232:233], -v[18:19]
	;; [unrolled: 1-line block ×3, first 2 shown]
	v_fma_f64 v[188:189], v[224:225], 2.0, -v[39:40]
	v_add_f64 v[218:219], v[222:223], -v[45:46]
	v_fma_f64 v[220:221], v[220:221], 2.0, -v[216:217]
	v_add_f64 v[224:225], v[176:177], -v[248:249]
	v_fma_f64 v[230:231], v[178:179], 2.0, -v[226:227]
	v_fma_f64 v[4:5], v[240:241], 2.0, -v[0:1]
	;; [unrolled: 1-line block ×4, first 2 shown]
	v_add_f64 v[178:179], v[214:215], -v[250:251]
	v_fma_f64 v[222:223], v[222:223], 2.0, -v[218:219]
	s_waitcnt vmcnt(0)
	ds_write_b128 v43, v[4:7]
	ds_write_b128 v43, v[0:3] offset:64
	buffer_load_dword v0, off, s[36:39], 0 offset:300 ; 4-byte Folded Reload
	v_fma_f64 v[228:229], v[176:177], 2.0, -v[224:225]
	v_add_f64 v[176:177], v[212:213], -v[246:247]
	s_waitcnt vmcnt(0)
	ds_write_b128 v0, v[12:15]
	ds_write_b128 v0, v[8:11] offset:64
	buffer_load_dword v0, off, s[36:39], 0 offset:296 ; 4-byte Folded Reload
	s_waitcnt vmcnt(0)
	ds_write_b128 v0, v[20:23]
	ds_write_b128 v0, v[16:19] offset:64
	buffer_load_dword v0, off, s[36:39], 0 offset:276 ; 4-byte Folded Reload
	;; [unrolled: 4-line block ×5, first 2 shown]
	s_waitcnt vmcnt(0)
	ds_write_b128 v0, v[228:231]
	ds_write_b128 v0, v[224:227] offset:64
	s_and_saveexec_b64 s[4:5], s[0:1]
	s_cbranch_execz .LBB0_33
; %bb.32:
	buffer_load_dword v4, off, s[36:39], 0  ; 4-byte Folded Reload
	v_fma_f64 v[2:3], v[214:215], 2.0, -v[178:179]
	v_fma_f64 v[0:1], v[212:213], 2.0, -v[176:177]
	s_movk_i32 s6, 0x378
	s_waitcnt vmcnt(0)
	v_and_or_b32 v4, v4, s6, v30
	v_lshlrev_b32_e32 v4, 4, v4
	ds_write_b128 v4, v[0:3]
	ds_write_b128 v4, v[176:179] offset:64
.LBB0_33:
	s_or_b64 exec, exec, s[4:5]
	s_waitcnt lgkmcnt(0)
	; wave barrier
	s_waitcnt lgkmcnt(0)
	ds_read_b128 v[0:3], v26
	ds_read_b128 v[4:7], v26 offset:4480
	ds_read_b128 v[8:11], v26 offset:8960
	;; [unrolled: 1-line block ×14, first 2 shown]
	s_waitcnt lgkmcnt(13)
	v_mul_f64 v[42:43], v[186:187], v[6:7]
	s_mov_b32 s4, 0xe8584caa
	s_mov_b32 s5, 0xbfebb67a
	;; [unrolled: 1-line block ×4, first 2 shown]
	s_waitcnt lgkmcnt(0)
	; wave barrier
	s_waitcnt lgkmcnt(0)
	s_mov_b32 s14, 0x134454ff
	v_fma_f64 v[42:43], v[184:185], v[4:5], v[42:43]
	v_mul_f64 v[4:5], v[186:187], v[4:5]
	s_mov_b32 s15, 0xbfee6f0e
	s_mov_b32 s17, 0x3fee6f0e
	;; [unrolled: 1-line block ×4, first 2 shown]
	v_fma_f64 v[44:45], v[184:185], v[6:7], -v[4:5]
	v_mul_f64 v[4:5], v[182:183], v[10:11]
	v_fma_f64 v[46:47], v[180:181], v[8:9], v[4:5]
	v_mul_f64 v[4:5], v[182:183], v[8:9]
	v_add_f64 v[6:7], v[42:43], v[46:47]
	v_fma_f64 v[10:11], v[180:181], v[10:11], -v[4:5]
	v_mul_f64 v[4:5], v[186:187], v[18:19]
	v_fma_f64 v[6:7], v[6:7], -0.5, v[0:1]
	v_add_f64 v[8:9], v[44:45], -v[10:11]
	v_fma_f64 v[232:233], v[184:185], v[16:17], v[4:5]
	v_mul_f64 v[4:5], v[186:187], v[16:17]
	v_add_f64 v[16:17], v[42:43], -v[46:47]
	v_fma_f64 v[234:235], v[184:185], v[18:19], -v[4:5]
	v_mul_f64 v[4:5], v[182:183], v[22:23]
	v_fma_f64 v[236:237], v[180:181], v[20:21], v[4:5]
	v_mul_f64 v[4:5], v[182:183], v[20:21]
	v_add_f64 v[18:19], v[232:233], v[236:237]
	v_fma_f64 v[22:23], v[180:181], v[22:23], -v[4:5]
	v_mul_f64 v[4:5], v[186:187], v[36:37]
	v_fma_f64 v[18:19], v[18:19], -0.5, v[12:13]
	v_add_f64 v[20:21], v[234:235], -v[22:23]
	v_fma_f64 v[238:239], v[184:185], v[34:35], v[4:5]
	v_mul_f64 v[4:5], v[186:187], v[34:35]
	v_add_f64 v[34:35], v[232:233], -v[236:237]
	v_fma_f64 v[240:241], v[184:185], v[36:37], -v[4:5]
	v_mul_f64 v[4:5], v[182:183], v[40:41]
	v_fma_f64 v[242:243], v[180:181], v[38:39], v[4:5]
	v_mul_f64 v[4:5], v[182:183], v[38:39]
	v_add_f64 v[36:37], v[238:239], v[242:243]
	v_fma_f64 v[40:41], v[180:181], v[40:41], -v[4:5]
	v_mul_f64 v[4:5], v[186:187], v[214:215]
	v_fma_f64 v[36:37], v[36:37], -0.5, v[30:31]
	v_add_f64 v[38:39], v[240:241], -v[40:41]
	v_fma_f64 v[244:245], v[184:185], v[212:213], v[4:5]
	v_mul_f64 v[4:5], v[186:187], v[212:213]
	v_fma_f64 v[212:213], v[184:185], v[214:215], -v[4:5]
	v_mul_f64 v[4:5], v[182:183], v[218:219]
	v_fma_f64 v[214:215], v[180:181], v[216:217], v[4:5]
	v_mul_f64 v[4:5], v[182:183], v[216:217]
	v_fma_f64 v[216:217], v[180:181], v[218:219], -v[4:5]
	v_mul_f64 v[4:5], v[186:187], v[226:227]
	;; [unrolled: 4-line block ×3, first 2 shown]
	v_fma_f64 v[226:227], v[180:181], v[228:229], v[4:5]
	v_mul_f64 v[4:5], v[182:183], v[228:229]
	v_fma_f64 v[228:229], v[180:181], v[230:231], -v[4:5]
	v_add_f64 v[4:5], v[0:1], v[42:43]
	v_fma_f64 v[0:1], v[8:9], s[4:5], v[6:7]
	v_fma_f64 v[8:9], v[8:9], s[6:7], v[6:7]
	v_add_f64 v[6:7], v[2:3], v[44:45]
	v_add_f64 v[42:43], v[238:239], -v[242:243]
	v_add_f64 v[4:5], v[4:5], v[46:47]
	v_add_f64 v[6:7], v[6:7], v[10:11]
	;; [unrolled: 1-line block ×3, first 2 shown]
	v_add_f64 v[44:45], v[212:213], -v[216:217]
	v_fma_f64 v[10:11], v[10:11], -0.5, v[2:3]
	v_fma_f64 v[2:3], v[16:17], s[6:7], v[10:11]
	v_fma_f64 v[10:11], v[16:17], s[4:5], v[10:11]
	v_add_f64 v[16:17], v[12:13], v[232:233]
	v_fma_f64 v[12:13], v[20:21], s[4:5], v[18:19]
	v_fma_f64 v[20:21], v[20:21], s[6:7], v[18:19]
	v_add_f64 v[18:19], v[14:15], v[234:235]
	v_add_f64 v[16:17], v[16:17], v[236:237]
	;; [unrolled: 1-line block ×4, first 2 shown]
	v_fma_f64 v[22:23], v[22:23], -0.5, v[14:15]
	v_fma_f64 v[14:15], v[34:35], s[6:7], v[22:23]
	v_fma_f64 v[22:23], v[34:35], s[4:5], v[22:23]
	v_add_f64 v[34:35], v[30:31], v[238:239]
	v_fma_f64 v[30:31], v[38:39], s[4:5], v[36:37]
	v_fma_f64 v[38:39], v[38:39], s[6:7], v[36:37]
	v_add_f64 v[36:37], v[32:33], v[240:241]
	v_add_f64 v[34:35], v[34:35], v[242:243]
	;; [unrolled: 1-line block ×4, first 2 shown]
	v_fma_f64 v[40:41], v[40:41], -0.5, v[32:33]
	v_fma_f64 v[32:33], v[42:43], s[6:7], v[40:41]
	v_fma_f64 v[40:41], v[42:43], s[4:5], v[40:41]
	v_add_f64 v[42:43], v[188:189], v[244:245]
	v_add_f64 v[180:181], v[42:43], v[214:215]
	;; [unrolled: 1-line block ×3, first 2 shown]
	v_fma_f64 v[42:43], v[42:43], -0.5, v[188:189]
	v_fma_f64 v[184:185], v[44:45], s[4:5], v[42:43]
	v_fma_f64 v[188:189], v[44:45], s[6:7], v[42:43]
	v_add_f64 v[42:43], v[190:191], v[212:213]
	v_add_f64 v[44:45], v[244:245], -v[214:215]
	v_add_f64 v[182:183], v[42:43], v[216:217]
	v_add_f64 v[42:43], v[212:213], v[216:217]
	v_fma_f64 v[42:43], v[42:43], -0.5, v[190:191]
	v_fma_f64 v[186:187], v[44:45], s[6:7], v[42:43]
	v_fma_f64 v[190:191], v[44:45], s[4:5], v[42:43]
	v_add_f64 v[42:43], v[220:221], v[218:219]
	v_add_f64 v[44:45], v[224:225], -v[228:229]
	v_add_f64 v[212:213], v[42:43], v[226:227]
	v_add_f64 v[42:43], v[218:219], v[226:227]
	;; [unrolled: 7-line block ×3, first 2 shown]
	v_fma_f64 v[42:43], v[42:43], -0.5, v[222:223]
	v_fma_f64 v[218:219], v[44:45], s[6:7], v[42:43]
	v_fma_f64 v[222:223], v[44:45], s[4:5], v[42:43]
	buffer_load_dword v42, off, s[36:39], 0 offset:208 ; 4-byte Folded Reload
	s_mov_b32 s6, 0x4755a5e
	s_mov_b32 s7, 0xbfe2cf23
	;; [unrolled: 1-line block ×5, first 2 shown]
	s_waitcnt vmcnt(0)
	ds_write_b128 v42, v[4:7]
	ds_write_b128 v42, v[0:3] offset:128
	ds_write_b128 v42, v[8:11] offset:256
	buffer_load_dword v0, off, s[36:39], 0 offset:212 ; 4-byte Folded Reload
	s_waitcnt vmcnt(0)
	ds_write_b128 v0, v[16:19]
	ds_write_b128 v0, v[12:15] offset:128
	ds_write_b128 v0, v[20:23] offset:256
	buffer_load_dword v0, off, s[36:39], 0 offset:216 ; 4-byte Folded Reload
	;; [unrolled: 5-line block ×4, first 2 shown]
	s_waitcnt vmcnt(0)
	ds_write_b128 v0, v[212:215]
	ds_write_b128 v0, v[216:219] offset:128
	ds_write_b128 v0, v[220:223] offset:256
	s_waitcnt lgkmcnt(0)
	; wave barrier
	s_waitcnt lgkmcnt(0)
	ds_read_b128 v[188:191], v26
	ds_read_b128 v[0:3], v26 offset:2688
	ds_read_b128 v[4:7], v26 offset:5376
	;; [unrolled: 1-line block ×14, first 2 shown]
	s_waitcnt lgkmcnt(13)
	v_mul_f64 v[42:43], v[150:151], v[2:3]
	s_waitcnt lgkmcnt(0)
	; wave barrier
	s_waitcnt lgkmcnt(0)
	v_fma_f64 v[42:43], v[148:149], v[0:1], v[42:43]
	v_mul_f64 v[0:1], v[150:151], v[0:1]
	v_fma_f64 v[44:45], v[148:149], v[2:3], -v[0:1]
	v_mul_f64 v[0:1], v[142:143], v[6:7]
	v_mul_f64 v[2:3], v[170:171], v[214:215]
	v_fma_f64 v[46:47], v[140:141], v[4:5], v[0:1]
	v_mul_f64 v[0:1], v[142:143], v[4:5]
	v_mul_f64 v[4:5], v[166:167], v[218:219]
	v_fma_f64 v[150:151], v[140:141], v[6:7], -v[0:1]
	v_mul_f64 v[0:1], v[134:135], v[10:11]
	v_mul_f64 v[6:7], v[162:163], v[222:223]
	v_fma_f64 v[142:143], v[132:133], v[8:9], v[0:1]
	v_mul_f64 v[0:1], v[134:135], v[8:9]
	v_fma_f64 v[224:225], v[132:133], v[10:11], -v[0:1]
	v_mul_f64 v[0:1], v[130:131], v[14:15]
	v_fma_f64 v[10:11], v[168:169], v[212:213], v[2:3]
	v_mul_f64 v[2:3], v[170:171], v[212:213]
	v_fma_f64 v[226:227], v[128:129], v[12:13], v[0:1]
	;; [unrolled: 2-line block ×3, first 2 shown]
	v_mul_f64 v[4:5], v[166:167], v[216:217]
	v_fma_f64 v[2:3], v[168:169], v[214:215], -v[2:3]
	v_add_f64 v[134:135], v[226:227], -v[142:143]
	v_fma_f64 v[228:229], v[128:129], v[14:15], -v[0:1]
	v_mul_f64 v[0:1], v[158:159], v[18:19]
	v_fma_f64 v[14:15], v[160:161], v[220:221], v[6:7]
	v_mul_f64 v[6:7], v[162:163], v[220:221]
	v_fma_f64 v[4:5], v[164:165], v[218:219], -v[4:5]
	v_fma_f64 v[128:129], v[156:157], v[16:17], v[0:1]
	v_mul_f64 v[0:1], v[158:159], v[16:17]
	v_fma_f64 v[6:7], v[160:161], v[222:223], -v[6:7]
	v_fma_f64 v[16:17], v[156:157], v[18:19], -v[0:1]
	v_mul_f64 v[0:1], v[154:155], v[22:23]
	v_fma_f64 v[130:131], v[152:153], v[20:21], v[0:1]
	v_mul_f64 v[0:1], v[154:155], v[20:21]
	v_fma_f64 v[18:19], v[152:153], v[22:23], -v[0:1]
	v_mul_f64 v[0:1], v[146:147], v[32:33]
	v_fma_f64 v[158:159], v[144:145], v[30:31], v[0:1]
	v_mul_f64 v[0:1], v[146:147], v[30:31]
	v_add_f64 v[30:31], v[188:189], v[42:43]
	v_fma_f64 v[20:21], v[144:145], v[32:33], -v[0:1]
	v_mul_f64 v[0:1], v[138:139], v[36:37]
	v_add_f64 v[30:31], v[30:31], v[46:47]
	v_fma_f64 v[32:33], v[136:137], v[34:35], v[0:1]
	v_mul_f64 v[0:1], v[138:139], v[34:35]
	v_add_f64 v[30:31], v[30:31], v[142:143]
	v_add_f64 v[34:35], v[44:45], -v[228:229]
	v_fma_f64 v[22:23], v[136:137], v[36:37], -v[0:1]
	v_mul_f64 v[0:1], v[174:175], v[40:41]
	v_add_f64 v[132:133], v[30:31], v[226:227]
	v_add_f64 v[30:31], v[46:47], v[142:143]
	v_fma_f64 v[8:9], v[172:173], v[38:39], v[0:1]
	v_mul_f64 v[0:1], v[174:175], v[38:39]
	v_fma_f64 v[30:31], v[30:31], -0.5, v[188:189]
	v_add_f64 v[38:39], v[150:151], -v[224:225]
	v_fma_f64 v[0:1], v[172:173], v[40:41], -v[0:1]
	v_fma_f64 v[36:37], v[34:35], s[14:15], v[30:31]
	v_add_f64 v[40:41], v[42:43], -v[46:47]
	v_fma_f64 v[30:31], v[34:35], s[16:17], v[30:31]
	v_fma_f64 v[36:37], v[38:39], s[6:7], v[36:37]
	v_add_f64 v[40:41], v[40:41], v[134:135]
	v_fma_f64 v[30:31], v[38:39], s[18:19], v[30:31]
	v_add_f64 v[134:135], v[142:143], -v[226:227]
	v_fma_f64 v[140:141], v[40:41], s[4:5], v[36:37]
	v_fma_f64 v[136:137], v[40:41], s[4:5], v[30:31]
	v_add_f64 v[30:31], v[42:43], v[226:227]
	v_add_f64 v[40:41], v[46:47], -v[42:43]
	v_fma_f64 v[30:31], v[30:31], -0.5, v[188:189]
	v_add_f64 v[40:41], v[40:41], v[134:135]
	v_fma_f64 v[36:37], v[38:39], s[16:17], v[30:31]
	v_fma_f64 v[30:31], v[38:39], s[14:15], v[30:31]
	v_add_f64 v[38:39], v[46:47], -v[142:143]
	v_fma_f64 v[36:37], v[34:35], s[6:7], v[36:37]
	v_fma_f64 v[30:31], v[34:35], s[18:19], v[30:31]
	v_add_f64 v[34:35], v[42:43], -v[226:227]
	v_add_f64 v[42:43], v[228:229], -v[224:225]
	v_fma_f64 v[148:149], v[40:41], s[4:5], v[36:37]
	v_fma_f64 v[144:145], v[40:41], s[4:5], v[30:31]
	v_add_f64 v[30:31], v[190:191], v[44:45]
	v_add_f64 v[40:41], v[44:45], -v[150:151]
	v_add_f64 v[30:31], v[30:31], v[150:151]
	v_add_f64 v[40:41], v[40:41], v[42:43]
	v_add_f64 v[42:43], v[224:225], -v[228:229]
	v_add_f64 v[30:31], v[30:31], v[224:225]
	v_add_f64 v[134:135], v[30:31], v[228:229]
	;; [unrolled: 1-line block ×3, first 2 shown]
	v_fma_f64 v[30:31], v[30:31], -0.5, v[190:191]
	v_fma_f64 v[36:37], v[34:35], s[16:17], v[30:31]
	v_fma_f64 v[30:31], v[34:35], s[14:15], v[30:31]
	;; [unrolled: 1-line block ×6, first 2 shown]
	v_add_f64 v[30:31], v[44:45], v[228:229]
	v_add_f64 v[40:41], v[150:151], -v[44:45]
	v_add_f64 v[44:45], v[22:23], -v[20:21]
	v_fma_f64 v[30:31], v[30:31], -0.5, v[190:191]
	v_add_f64 v[40:41], v[40:41], v[42:43]
	v_add_f64 v[42:43], v[32:33], -v[158:159]
	v_fma_f64 v[36:37], v[38:39], s[14:15], v[30:31]
	v_fma_f64 v[30:31], v[38:39], s[16:17], v[30:31]
	v_add_f64 v[38:39], v[18:19], -v[20:21]
	v_fma_f64 v[36:37], v[34:35], s[18:19], v[36:37]
	v_fma_f64 v[30:31], v[34:35], s[6:7], v[30:31]
	;; [unrolled: 3-line block ×3, first 2 shown]
	v_add_f64 v[30:31], v[184:185], v[128:129]
	v_add_f64 v[40:41], v[128:129], -v[130:131]
	v_add_f64 v[30:31], v[30:31], v[130:131]
	v_add_f64 v[40:41], v[40:41], v[42:43]
	v_add_f64 v[42:43], v[158:159], -v[32:33]
	v_add_f64 v[30:31], v[30:31], v[158:159]
	v_add_f64 v[152:153], v[30:31], v[32:33]
	;; [unrolled: 1-line block ×3, first 2 shown]
	v_fma_f64 v[30:31], v[30:31], -0.5, v[184:185]
	v_fma_f64 v[36:37], v[34:35], s[14:15], v[30:31]
	v_fma_f64 v[30:31], v[34:35], s[16:17], v[30:31]
	;; [unrolled: 1-line block ×6, first 2 shown]
	v_add_f64 v[30:31], v[128:129], v[32:33]
	v_add_f64 v[40:41], v[130:131], -v[128:129]
	v_fma_f64 v[36:37], v[30:31], -0.5, v[184:185]
	v_add_f64 v[40:41], v[40:41], v[42:43]
	v_add_f64 v[42:43], v[16:17], -v[18:19]
	v_fma_f64 v[30:31], v[38:39], s[16:17], v[36:37]
	v_fma_f64 v[36:37], v[38:39], s[14:15], v[36:37]
	v_add_f64 v[38:39], v[128:129], -v[32:33]
	v_add_f64 v[42:43], v[42:43], v[44:45]
	v_add_f64 v[44:45], v[12:13], -v[14:15]
	v_fma_f64 v[30:31], v[34:35], s[6:7], v[30:31]
	v_fma_f64 v[34:35], v[34:35], s[18:19], v[36:37]
	v_add_f64 v[36:37], v[186:187], v[16:17]
	v_fma_f64 v[30:31], v[40:41], s[4:5], v[30:31]
	v_fma_f64 v[34:35], v[40:41], s[4:5], v[34:35]
	v_add_f64 v[36:37], v[36:37], v[18:19]
	v_add_f64 v[40:41], v[130:131], -v[158:159]
	v_add_f64 v[36:37], v[36:37], v[20:21]
	v_add_f64 v[154:155], v[36:37], v[22:23]
	;; [unrolled: 1-line block ×3, first 2 shown]
	v_fma_f64 v[36:37], v[36:37], -0.5, v[186:187]
	v_fma_f64 v[32:33], v[38:39], s[16:17], v[36:37]
	v_fma_f64 v[32:33], v[40:41], s[18:19], v[32:33]
	;; [unrolled: 1-line block ×6, first 2 shown]
	v_add_f64 v[32:33], v[16:17], v[22:23]
	v_add_f64 v[16:17], v[18:19], -v[16:17]
	v_add_f64 v[18:19], v[20:21], -v[22:23]
	;; [unrolled: 1-line block ×4, first 2 shown]
	v_fma_f64 v[36:37], v[32:33], -0.5, v[186:187]
	v_add_f64 v[16:17], v[16:17], v[18:19]
	v_fma_f64 v[18:19], v[40:41], s[16:17], v[36:37]
	v_fma_f64 v[32:33], v[40:41], s[14:15], v[36:37]
	v_add_f64 v[40:41], v[2:3], -v[4:5]
	v_fma_f64 v[18:19], v[38:39], s[6:7], v[18:19]
	v_fma_f64 v[32:33], v[38:39], s[18:19], v[32:33]
	v_add_f64 v[38:39], v[8:9], -v[10:11]
	v_fma_f64 v[36:37], v[16:17], s[4:5], v[18:19]
	v_add_f64 v[18:19], v[10:11], v[12:13]
	v_add_f64 v[38:39], v[38:39], v[42:43]
	v_fma_f64 v[32:33], v[16:17], s[4:5], v[32:33]
	v_add_f64 v[16:17], v[180:181], v[8:9]
	v_add_f64 v[42:43], v[10:11], -v[8:9]
	v_fma_f64 v[18:19], v[18:19], -0.5, v[180:181]
	v_add_f64 v[16:17], v[16:17], v[10:11]
	v_add_f64 v[10:11], v[10:11], -v[12:13]
	v_add_f64 v[42:43], v[42:43], v[44:45]
	v_fma_f64 v[20:21], v[22:23], s[14:15], v[18:19]
	v_fma_f64 v[18:19], v[22:23], s[16:17], v[18:19]
	v_add_f64 v[16:17], v[16:17], v[12:13]
	v_fma_f64 v[20:21], v[40:41], s[6:7], v[20:21]
	v_fma_f64 v[18:19], v[40:41], s[18:19], v[18:19]
	;; [unrolled: 3-line block ×3, first 2 shown]
	v_add_f64 v[18:19], v[8:9], v[14:15]
	v_add_f64 v[8:9], v[8:9], -v[14:15]
	v_fma_f64 v[18:19], v[18:19], -0.5, v[180:181]
	v_fma_f64 v[38:39], v[40:41], s[16:17], v[18:19]
	v_fma_f64 v[18:19], v[40:41], s[14:15], v[18:19]
	;; [unrolled: 1-line block ×4, first 2 shown]
	v_add_f64 v[22:23], v[2:3], v[4:5]
	v_fma_f64 v[38:39], v[42:43], s[4:5], v[38:39]
	v_fma_f64 v[164:165], v[42:43], s[4:5], v[18:19]
	v_fma_f64 v[40:41], v[22:23], -0.5, v[182:183]
	v_add_f64 v[22:23], v[6:7], -v[4:5]
	v_add_f64 v[18:19], v[182:183], v[0:1]
	v_fma_f64 v[14:15], v[8:9], s[16:17], v[40:41]
	v_add_f64 v[18:19], v[18:19], v[2:3]
	v_fma_f64 v[12:13], v[10:11], s[18:19], v[14:15]
	v_add_f64 v[14:15], v[0:1], -v[2:3]
	v_add_f64 v[18:19], v[18:19], v[4:5]
	v_add_f64 v[14:15], v[14:15], v[22:23]
	;; [unrolled: 1-line block ×3, first 2 shown]
	v_fma_f64 v[22:23], v[14:15], s[4:5], v[12:13]
	v_fma_f64 v[12:13], v[8:9], s[14:15], v[40:41]
	v_fma_f64 v[12:13], v[10:11], s[6:7], v[12:13]
	v_fma_f64 v[130:131], v[14:15], s[4:5], v[12:13]
	v_add_f64 v[12:13], v[0:1], v[6:7]
	v_add_f64 v[0:1], v[2:3], -v[0:1]
	v_add_f64 v[2:3], v[4:5], -v[6:7]
	v_fma_f64 v[12:13], v[12:13], -0.5, v[182:183]
	v_add_f64 v[0:1], v[0:1], v[2:3]
	v_fma_f64 v[2:3], v[10:11], s[16:17], v[12:13]
	v_fma_f64 v[14:15], v[10:11], s[14:15], v[12:13]
	;; [unrolled: 1-line block ×6, first 2 shown]
	ds_write_b128 v25, v[132:135]
	ds_write_b128 v25, v[140:143] offset:384
	ds_write_b128 v25, v[148:151] offset:768
	ds_write_b128 v25, v[144:147] offset:1152
	ds_write_b128 v25, v[136:139] offset:1536
	ds_write_b128 v28, v[152:155]
	ds_write_b128 v28, v[160:163] offset:384
	ds_write_b128 v28, v[30:33] offset:768
	ds_write_b128 v28, v[34:37] offset:1152
	ds_write_b128 v28, v[156:159] offset:1536
	;; [unrolled: 5-line block ×3, first 2 shown]
	s_waitcnt lgkmcnt(0)
	; wave barrier
	s_waitcnt lgkmcnt(0)
	ds_read_b128 v[140:143], v26
	ds_read_b128 v[188:191], v26 offset:1920
	ds_read_b128 v[184:187], v26 offset:3840
	;; [unrolled: 1-line block ×13, first 2 shown]
	s_and_saveexec_b64 s[4:5], s[2:3]
	s_cbranch_execz .LBB0_35
; %bb.34:
	ds_read_b128 v[128:131], v26 offset:1792
	ds_read_b128 v[176:179], v26 offset:3712
	;; [unrolled: 1-line block ×7, first 2 shown]
.LBB0_35:
	s_or_b64 exec, exec, s[4:5]
	s_waitcnt lgkmcnt(12)
	v_mul_f64 v[0:1], v[98:99], v[190:191]
	s_waitcnt lgkmcnt(11)
	v_mul_f64 v[4:5], v[90:91], v[186:187]
	;; [unrolled: 2-line block ×4, first 2 shown]
	v_mul_f64 v[2:3], v[98:99], v[188:189]
	v_mul_f64 v[6:7], v[90:91], v[184:185]
	;; [unrolled: 1-line block ×4, first 2 shown]
	v_fma_f64 v[0:1], v[96:97], v[188:189], v[0:1]
	v_fma_f64 v[4:5], v[88:89], v[184:185], v[4:5]
	v_mul_f64 v[12:13], v[74:75], v[170:171]
	v_mul_f64 v[14:15], v[74:75], v[168:169]
	;; [unrolled: 1-line block ×4, first 2 shown]
	v_fma_f64 v[16:17], v[112:113], v[164:165], v[16:17]
	v_fma_f64 v[20:21], v[108:109], v[160:161], v[20:21]
	v_fma_f64 v[2:3], v[96:97], v[190:191], -v[2:3]
	v_fma_f64 v[6:7], v[88:89], v[186:187], -v[6:7]
	v_fma_f64 v[8:9], v[84:85], v[180:181], v[8:9]
	v_fma_f64 v[10:11], v[84:85], v[182:183], -v[10:11]
	v_fma_f64 v[12:13], v[72:73], v[168:169], v[12:13]
	v_fma_f64 v[14:15], v[72:73], v[170:171], -v[14:15]
	v_fma_f64 v[18:19], v[112:113], v[166:167], -v[18:19]
	;; [unrolled: 1-line block ×3, first 2 shown]
	v_add_f64 v[74:75], v[0:1], v[20:21]
	v_add_f64 v[0:1], v[0:1], -v[20:21]
	v_add_f64 v[20:21], v[4:5], v[16:17]
	s_waitcnt lgkmcnt(2)
	v_mul_f64 v[40:41], v[94:95], v[154:155]
	v_mul_f64 v[42:43], v[94:95], v[152:153]
	v_add_f64 v[4:5], v[4:5], -v[16:17]
	v_add_f64 v[16:17], v[8:9], v[12:13]
	v_add_f64 v[84:85], v[2:3], v[22:23]
	v_add_f64 v[2:3], v[2:3], -v[22:23]
	v_add_f64 v[22:23], v[6:7], v[18:19]
	v_add_f64 v[6:7], v[6:7], -v[18:19]
	;; [unrolled: 2-line block ×3, first 2 shown]
	v_add_f64 v[10:11], v[14:15], -v[10:11]
	v_add_f64 v[12:13], v[20:21], v[74:75]
	v_mul_f64 v[36:37], v[102:103], v[150:151]
	v_mul_f64 v[38:39], v[102:103], v[148:149]
	v_fma_f64 v[40:41], v[92:93], v[152:153], v[40:41]
	v_fma_f64 v[42:43], v[92:93], v[154:155], -v[42:43]
	v_add_f64 v[14:15], v[22:23], v[84:85]
	v_add_f64 v[86:87], v[20:21], -v[74:75]
	v_add_f64 v[88:89], v[22:23], -v[84:85]
	;; [unrolled: 1-line block ×6, first 2 shown]
	v_add_f64 v[90:91], v[8:9], v[4:5]
	v_add_f64 v[92:93], v[10:11], v[6:7]
	v_add_f64 v[96:97], v[10:11], -v[6:7]
	v_add_f64 v[12:13], v[16:17], v[12:13]
	v_add_f64 v[6:7], v[6:7], -v[2:3]
	s_mov_b32 s16, 0x37e14327
	s_mov_b32 s6, 0x36b3c0b5
	;; [unrolled: 1-line block ×8, first 2 shown]
	v_fma_f64 v[36:37], v[100:101], v[148:149], v[36:37]
	v_fma_f64 v[38:39], v[100:101], v[150:151], -v[38:39]
	v_add_f64 v[94:95], v[8:9], -v[4:5]
	v_add_f64 v[14:15], v[18:19], v[14:15]
	v_add_f64 v[8:9], v[0:1], -v[8:9]
	v_add_f64 v[10:11], v[2:3], -v[10:11]
	v_add_f64 v[4:5], v[4:5], -v[0:1]
	v_add_f64 v[16:17], v[90:91], v[0:1]
	v_add_f64 v[18:19], v[92:93], v[2:3]
	;; [unrolled: 1-line block ×3, first 2 shown]
	v_mul_f64 v[74:75], v[74:75], s[16:17]
	v_mul_f64 v[84:85], v[84:85], s[16:17]
	;; [unrolled: 1-line block ×6, first 2 shown]
	s_mov_b32 s26, 0xaaaaaaaa
	s_mov_b32 s14, 0x5476071b
	;; [unrolled: 1-line block ×10, first 2 shown]
	v_mul_f64 v[28:29], v[122:123], v[174:175]
	v_mul_f64 v[30:31], v[122:123], v[172:173]
	;; [unrolled: 1-line block ×4, first 2 shown]
	s_waitcnt lgkmcnt(1)
	v_mul_f64 v[44:45], v[118:119], v[158:159]
	v_mul_f64 v[46:47], v[118:119], v[156:157]
	s_waitcnt lgkmcnt(0)
	v_mul_f64 v[72:73], v[58:59], v[138:139]
	v_mul_f64 v[58:59], v[58:59], v[136:137]
	v_add_f64 v[2:3], v[142:143], v[14:15]
	v_mul_f64 v[94:95], v[94:95], s[18:19]
	v_mul_f64 v[98:99], v[4:5], s[4:5]
	v_fma_f64 v[12:13], v[12:13], s[26:27], v[0:1]
	v_fma_f64 v[20:21], v[20:21], s[6:7], v[74:75]
	;; [unrolled: 1-line block ×3, first 2 shown]
	v_fma_f64 v[90:91], v[86:87], s[14:15], -v[90:91]
	v_fma_f64 v[92:93], v[88:89], s[14:15], -v[92:93]
	;; [unrolled: 1-line block ×4, first 2 shown]
	v_fma_f64 v[88:89], v[10:11], s[28:29], v[96:97]
	v_fma_f64 v[6:7], v[6:7], s[4:5], -v[96:97]
	v_fma_f64 v[10:11], v[10:11], s[24:25], -v[100:101]
	s_mov_b32 s22, 0x37c3f68c
	s_mov_b32 s23, 0xbfdc38aa
	v_fma_f64 v[28:29], v[120:121], v[172:173], v[28:29]
	v_fma_f64 v[30:31], v[120:121], v[174:175], -v[30:31]
	v_fma_f64 v[32:33], v[104:105], v[144:145], v[32:33]
	v_fma_f64 v[34:35], v[104:105], v[146:147], -v[34:35]
	v_fma_f64 v[44:45], v[116:117], v[156:157], v[44:45]
	v_fma_f64 v[46:47], v[116:117], v[158:159], -v[46:47]
	v_fma_f64 v[14:15], v[14:15], s[26:27], v[2:3]
	v_fma_f64 v[86:87], v[8:9], s[28:29], v[94:95]
	v_fma_f64 v[4:5], v[4:5], s[4:5], -v[94:95]
	v_fma_f64 v[8:9], v[8:9], s[24:25], -v[98:99]
	v_add_f64 v[94:95], v[20:21], v[12:13]
	v_add_f64 v[20:21], v[90:91], v[12:13]
	;; [unrolled: 1-line block ×3, first 2 shown]
	v_fma_f64 v[88:89], v[18:19], s[22:23], v[88:89]
	v_fma_f64 v[90:91], v[18:19], s[22:23], v[10:11]
	;; [unrolled: 1-line block ×4, first 2 shown]
	v_fma_f64 v[56:57], v[56:57], v[138:139], -v[58:59]
	v_add_f64 v[96:97], v[22:23], v[14:15]
	v_add_f64 v[22:23], v[92:93], v[14:15]
	v_fma_f64 v[86:87], v[16:17], s[22:23], v[86:87]
	v_fma_f64 v[92:93], v[16:17], s[22:23], v[8:9]
	;; [unrolled: 1-line block ×3, first 2 shown]
	v_add_f64 v[8:9], v[90:91], v[74:75]
	v_add_f64 v[12:13], v[20:21], -v[18:19]
	v_add_f64 v[16:17], v[18:19], v[20:21]
	v_add_f64 v[20:21], v[74:75], -v[90:91]
	v_add_f64 v[58:59], v[28:29], v[72:73]
	v_add_f64 v[74:75], v[30:31], v[56:57]
	v_add_f64 v[28:29], v[28:29], -v[72:73]
	v_add_f64 v[30:31], v[30:31], -v[56:57]
	v_add_f64 v[56:57], v[32:33], v[44:45]
	v_add_f64 v[72:73], v[34:35], v[46:47]
	;; [unrolled: 1-line block ×3, first 2 shown]
	v_add_f64 v[32:33], v[32:33], -v[44:45]
	v_add_f64 v[34:35], v[34:35], -v[46:47]
	v_add_f64 v[44:45], v[36:37], v[40:41]
	v_add_f64 v[46:47], v[38:39], v[42:43]
	v_add_f64 v[36:37], v[40:41], -v[36:37]
	v_add_f64 v[38:39], v[42:43], -v[38:39]
	v_add_f64 v[40:41], v[56:57], v[58:59]
	v_add_f64 v[42:43], v[72:73], v[74:75]
	v_add_f64 v[10:11], v[84:85], -v[92:93]
	v_add_f64 v[14:15], v[98:99], v[22:23]
	v_add_f64 v[18:19], v[22:23], -v[98:99]
	;; [unrolled: 2-line block ×3, first 2 shown]
	v_add_f64 v[90:91], v[72:73], -v[74:75]
	v_add_f64 v[58:59], v[58:59], -v[44:45]
	;; [unrolled: 1-line block ×5, first 2 shown]
	v_add_f64 v[92:93], v[36:37], v[32:33]
	v_add_f64 v[98:99], v[38:39], v[34:35]
	v_add_f64 v[100:101], v[36:37], -v[32:33]
	v_add_f64 v[102:103], v[38:39], -v[34:35]
	v_add_f64 v[40:41], v[44:45], v[40:41]
	v_add_f64 v[42:43], v[46:47], v[42:43]
	v_add_f64 v[32:33], v[32:33], -v[28:29]
	v_add_f64 v[34:35], v[34:35], -v[30:31]
	;; [unrolled: 1-line block ×4, first 2 shown]
	v_add_f64 v[44:45], v[92:93], v[28:29]
	v_add_f64 v[46:47], v[98:99], v[30:31]
	;; [unrolled: 1-line block ×4, first 2 shown]
	v_mul_f64 v[58:59], v[58:59], s[16:17]
	v_mul_f64 v[74:75], v[74:75], s[16:17]
	;; [unrolled: 1-line block ×8, first 2 shown]
	v_fma_f64 v[40:41], v[40:41], s[26:27], v[28:29]
	v_fma_f64 v[42:43], v[42:43], s[26:27], v[30:31]
	;; [unrolled: 1-line block ×4, first 2 shown]
	v_fma_f64 v[92:93], v[84:85], s[14:15], -v[92:93]
	v_fma_f64 v[98:99], v[90:91], s[14:15], -v[98:99]
	;; [unrolled: 1-line block ×4, first 2 shown]
	v_fma_f64 v[84:85], v[36:37], s[28:29], v[100:101]
	v_fma_f64 v[90:91], v[38:39], s[28:29], v[102:103]
	v_fma_f64 v[32:33], v[32:33], s[4:5], -v[100:101]
	v_fma_f64 v[34:35], v[34:35], s[4:5], -v[102:103]
	;; [unrolled: 1-line block ×4, first 2 shown]
	v_add_f64 v[100:101], v[56:57], v[40:41]
	v_add_f64 v[102:103], v[72:73], v[42:43]
	;; [unrolled: 1-line block ×6, first 2 shown]
	v_fma_f64 v[90:91], v[46:47], s[22:23], v[90:91]
	v_fma_f64 v[106:107], v[44:45], s[22:23], v[84:85]
	;; [unrolled: 1-line block ×6, first 2 shown]
	v_add_f64 v[4:5], v[88:89], v[94:95]
	v_add_f64 v[6:7], v[96:97], -v[86:87]
	v_add_f64 v[32:33], v[94:95], -v[88:89]
	v_add_f64 v[34:35], v[86:87], v[96:97]
	v_add_f64 v[36:37], v[90:91], v[100:101]
	v_add_f64 v[38:39], v[102:103], -v[106:107]
	v_add_f64 v[40:41], v[84:85], v[98:99]
	v_add_f64 v[42:43], v[104:105], -v[108:109]
	v_add_f64 v[56:57], v[72:73], -v[46:47]
	v_add_f64 v[58:59], v[44:45], v[92:93]
	v_add_f64 v[72:73], v[46:47], v[72:73]
	v_add_f64 v[74:75], v[92:93], -v[44:45]
	v_add_f64 v[84:85], v[98:99], -v[84:85]
	v_add_f64 v[86:87], v[108:109], v[104:105]
	v_add_f64 v[88:89], v[100:101], -v[90:91]
	v_add_f64 v[90:91], v[106:107], v[102:103]
	ds_write_b128 v26, v[0:3]
	ds_write_b128 v26, v[4:7] offset:1920
	ds_write_b128 v26, v[8:11] offset:3840
	;; [unrolled: 1-line block ×13, first 2 shown]
	s_and_saveexec_b64 s[30:31], s[2:3]
	s_cbranch_execz .LBB0_37
; %bb.36:
	v_mul_f64 v[0:1], v[62:63], v[202:203]
	v_mul_f64 v[2:3], v[66:67], v[198:199]
	;; [unrolled: 1-line block ×10, first 2 shown]
	v_fma_f64 v[0:1], v[60:61], v[200:201], v[0:1]
	v_fma_f64 v[2:3], v[64:65], v[196:197], v[2:3]
	v_fma_f64 v[8:9], v[80:81], v[210:211], -v[8:9]
	v_fma_f64 v[10:11], v[76:77], v[178:179], -v[10:11]
	v_mul_f64 v[20:21], v[66:67], v[196:197]
	v_mul_f64 v[22:23], v[62:63], v[200:201]
	v_fma_f64 v[12:13], v[124:125], v[206:207], -v[12:13]
	v_fma_f64 v[14:15], v[68:69], v[194:195], -v[14:15]
	v_fma_f64 v[16:17], v[68:69], v[192:193], v[16:17]
	v_fma_f64 v[18:19], v[124:125], v[204:205], v[18:19]
	;; [unrolled: 1-line block ×4, first 2 shown]
	v_fma_f64 v[20:21], v[64:65], v[198:199], -v[20:21]
	v_fma_f64 v[22:23], v[60:61], v[202:203], -v[22:23]
	v_add_f64 v[28:29], v[10:11], v[8:9]
	v_add_f64 v[30:31], v[14:15], v[12:13]
	v_add_f64 v[32:33], v[0:1], -v[2:3]
	v_add_f64 v[34:35], v[16:17], -v[18:19]
	v_add_f64 v[16:17], v[16:17], v[18:19]
	v_add_f64 v[40:41], v[4:5], -v[6:7]
	v_add_f64 v[4:5], v[4:5], v[6:7]
	v_add_f64 v[36:37], v[20:21], v[22:23]
	;; [unrolled: 1-line block ×4, first 2 shown]
	v_add_f64 v[20:21], v[22:23], -v[20:21]
	v_add_f64 v[42:43], v[32:33], -v[34:35]
	;; [unrolled: 1-line block ×4, first 2 shown]
	v_add_f64 v[44:45], v[16:17], v[4:5]
	v_add_f64 v[6:7], v[28:29], -v[36:37]
	v_add_f64 v[10:11], v[4:5], -v[46:47]
	v_add_f64 v[18:19], v[36:37], v[38:39]
	v_add_f64 v[38:39], v[40:41], -v[32:33]
	v_mul_f64 v[42:43], v[42:43], s[18:19]
	v_add_f64 v[32:33], v[32:33], v[34:35]
	v_add_f64 v[14:15], v[34:35], -v[40:41]
	v_add_f64 v[60:61], v[12:13], -v[8:9]
	v_mul_f64 v[56:57], v[6:7], s[16:17]
	v_add_f64 v[6:7], v[36:37], -v[30:31]
	v_add_f64 v[2:3], v[130:131], v[18:19]
	v_add_f64 v[36:37], v[46:47], v[44:45]
	v_fma_f64 v[44:45], v[38:39], s[28:29], v[42:43]
	v_add_f64 v[32:33], v[32:33], v[40:41]
	v_add_f64 v[22:23], v[46:47], -v[16:17]
	v_add_f64 v[28:29], v[30:31], -v[28:29]
	v_mul_f64 v[10:11], v[10:11], s[16:17]
	v_fma_f64 v[58:59], v[6:7], s[6:7], v[56:57]
	v_fma_f64 v[18:19], v[18:19], s[26:27], v[2:3]
	v_add_f64 v[0:1], v[128:129], v[36:37]
	v_mul_f64 v[30:31], v[6:7], s[6:7]
	v_fma_f64 v[34:35], v[32:33], s[22:23], v[44:45]
	v_add_f64 v[44:45], v[20:21], -v[12:13]
	v_mul_f64 v[46:47], v[14:15], s[4:5]
	v_add_f64 v[12:13], v[20:21], v[12:13]
	v_add_f64 v[4:5], v[16:17], -v[4:5]
	v_add_f64 v[40:41], v[58:59], v[18:19]
	v_add_f64 v[58:59], v[8:9], -v[20:21]
	v_mul_f64 v[16:17], v[60:61], s[4:5]
	v_mul_f64 v[20:21], v[22:23], s[6:7]
	;; [unrolled: 1-line block ×3, first 2 shown]
	v_fma_f64 v[36:37], v[36:37], s[26:27], v[0:1]
	v_fma_f64 v[22:23], v[22:23], s[6:7], v[10:11]
	v_fma_f64 v[38:39], v[38:39], s[24:25], -v[46:47]
	v_fma_f64 v[46:47], v[28:29], s[20:21], -v[56:57]
	v_add_f64 v[8:9], v[12:13], v[8:9]
	v_fma_f64 v[12:13], v[28:29], s[14:15], -v[30:31]
	v_fma_f64 v[14:15], v[14:15], s[4:5], -v[42:43]
	v_fma_f64 v[56:57], v[58:59], s[28:29], v[44:45]
	v_fma_f64 v[10:11], v[4:5], s[20:21], -v[10:11]
	v_fma_f64 v[16:17], v[58:59], s[24:25], -v[16:17]
	;; [unrolled: 1-line block ×4, first 2 shown]
	v_fma_f64 v[28:29], v[32:33], s[22:23], v[38:39]
	v_add_f64 v[30:31], v[46:47], v[18:19]
	v_add_f64 v[12:13], v[12:13], v[18:19]
	v_fma_f64 v[18:19], v[32:33], s[22:23], v[14:15]
	v_add_f64 v[32:33], v[22:23], v[36:37]
	v_fma_f64 v[38:39], v[8:9], s[22:23], v[56:57]
	v_add_f64 v[42:43], v[10:11], v[36:37]
	v_fma_f64 v[44:45], v[8:9], s[22:23], v[16:17]
	v_add_f64 v[4:5], v[4:5], v[36:37]
	v_fma_f64 v[8:9], v[8:9], s[22:23], v[20:21]
	v_add_f64 v[10:11], v[28:29], v[30:31]
	v_add_f64 v[22:23], v[30:31], -v[28:29]
	v_add_f64 v[30:31], v[40:41], -v[34:35]
	v_add_f64 v[28:29], v[38:39], v[32:33]
	v_add_f64 v[14:15], v[12:13], -v[18:19]
	v_add_f64 v[20:21], v[44:45], v[42:43]
	v_add_f64 v[18:19], v[18:19], v[12:13]
	v_add_f64 v[16:17], v[4:5], -v[8:9]
	v_add_f64 v[12:13], v[8:9], v[4:5]
	v_add_f64 v[8:9], v[42:43], -v[44:45]
	;; [unrolled: 2-line block ×3, first 2 shown]
	ds_write_b128 v26, v[0:3] offset:1792
	ds_write_b128 v26, v[28:31] offset:3712
	;; [unrolled: 1-line block ×7, first 2 shown]
.LBB0_37:
	s_or_b64 exec, exec, s[30:31]
	buffer_load_dword v0, off, s[36:39], 0 offset:136 ; 4-byte Folded Reload
	buffer_load_dword v1, off, s[36:39], 0 offset:140 ; 4-byte Folded Reload
	s_waitcnt lgkmcnt(0)
	; wave barrier
	s_waitcnt lgkmcnt(0)
	v_mad_u64_u32 v[18:19], s[2:3], s8, v27, 0
	v_mov_b32_e32 v25, s13
	s_mul_hi_u32 s7, s8, 0xfffffe94
	s_mul_i32 s6, s9, 0xfffffe94
	s_sub_i32 s7, s7, s8
	s_add_i32 s7, s7, s6
	s_mul_i32 s6, s8, 0xfffffe94
	s_lshl_b64 s[6:7], s[6:7], 4
	v_mov_b32_e32 v33, s7
	ds_read_b128 v[4:7], v26 offset:896
	s_waitcnt vmcnt(1)
	v_mov_b32_e32 v11, v0
	s_waitcnt vmcnt(0)
	ds_read_b128 v[0:3], v26
	v_mad_u64_u32 v[16:17], s[2:3], s10, v11, 0
	s_waitcnt lgkmcnt(0)
	v_mul_f64 v[9:10], v[54:55], v[2:3]
	v_mov_b32_e32 v8, v17
	v_mad_u64_u32 v[11:12], s[2:3], s11, v11, v[8:9]
	v_mul_f64 v[12:13], v[54:55], v[0:1]
	v_fma_f64 v[8:9], v[52:53], v[0:1], v[9:10]
	v_mov_b32_e32 v0, v19
	v_mov_b32_e32 v17, v11
	s_mov_b32 s2, 0x13813814
	s_mov_b32 s3, 0x3f538138
	v_lshlrev_b64 v[16:17], 4, v[16:17]
	v_fma_f64 v[10:11], v[52:53], v[2:3], -v[12:13]
	v_mad_u64_u32 v[12:13], s[4:5], s9, v27, v[0:1]
	ds_read_b128 v[0:3], v26 offset:6720
	v_mul_f64 v[8:9], v[8:9], s[2:3]
	v_mov_b32_e32 v19, v12
	ds_read_b128 v[12:15], v26 offset:5376
	buffer_load_dword v28, off, s[36:39], 0 offset:40 ; 4-byte Folded Reload
	buffer_load_dword v29, off, s[36:39], 0 offset:44 ; 4-byte Folded Reload
	;; [unrolled: 1-line block ×4, first 2 shown]
	v_mul_f64 v[10:11], v[10:11], s[2:3]
	v_add_co_u32_e32 v27, vcc, s12, v16
	v_addc_co_u32_e32 v25, vcc, v25, v17, vcc
	v_lshlrev_b64 v[16:17], 4, v[18:19]
	s_mul_i32 s4, s9, 0x1a4
	v_add_co_u32_e32 v16, vcc, v27, v16
	v_addc_co_u32_e32 v17, vcc, v25, v17, vcc
	global_store_dwordx4 v[16:17], v[8:11], off
	s_mul_hi_u32 s5, s8, 0x1a4
	s_add_i32 s5, s5, s4
	s_mul_i32 s4, s8, 0x1a4
	s_lshl_b64 s[4:5], s[4:5], 4
	v_mov_b32_e32 v25, s5
	s_waitcnt vmcnt(1) lgkmcnt(1)
	v_mul_f64 v[20:21], v[30:31], v[2:3]
	v_mul_f64 v[22:23], v[30:31], v[0:1]
	v_fma_f64 v[0:1], v[28:29], v[0:1], v[20:21]
	buffer_load_dword v18, off, s[36:39], 0 offset:8 ; 4-byte Folded Reload
	buffer_load_dword v19, off, s[36:39], 0 offset:12 ; 4-byte Folded Reload
	;; [unrolled: 1-line block ×4, first 2 shown]
	v_fma_f64 v[2:3], v[28:29], v[2:3], -v[22:23]
	v_mul_f64 v[0:1], v[0:1], s[2:3]
	v_mul_f64 v[2:3], v[2:3], s[2:3]
	s_waitcnt vmcnt(0)
	v_mul_f64 v[8:9], v[20:21], v[6:7]
	v_mul_f64 v[10:11], v[20:21], v[4:5]
	v_add_co_u32_e32 v20, vcc, s4, v16
	v_addc_co_u32_e32 v21, vcc, v17, v25, vcc
	global_store_dwordx4 v[20:21], v[0:3], off
	v_add_co_u32_e32 v20, vcc, s6, v20
	v_fma_f64 v[4:5], v[18:19], v[4:5], v[8:9]
	v_fma_f64 v[8:9], v[18:19], v[6:7], -v[10:11]
	v_addc_co_u32_e32 v21, vcc, v21, v33, vcc
	v_mul_f64 v[0:1], v[4:5], s[2:3]
	ds_read_b128 v[4:7], v26 offset:7616
	v_mul_f64 v[2:3], v[8:9], s[2:3]
	ds_read_b128 v[8:11], v26 offset:8512
	buffer_load_dword v29, off, s[36:39], 0 offset:24 ; 4-byte Folded Reload
	buffer_load_dword v30, off, s[36:39], 0 offset:28 ; 4-byte Folded Reload
	;; [unrolled: 1-line block ×4, first 2 shown]
	ds_read_b128 v[16:19], v26 offset:1792
	s_waitcnt vmcnt(0) lgkmcnt(2)
	v_mul_f64 v[22:23], v[31:32], v[6:7]
	v_mul_f64 v[27:28], v[31:32], v[4:5]
	v_fma_f64 v[22:23], v[29:30], v[4:5], v[22:23]
	v_fma_f64 v[27:28], v[29:30], v[6:7], -v[27:28]
	ds_read_b128 v[4:7], v26 offset:2688
	buffer_load_dword v34, off, s[36:39], 0 offset:104 ; 4-byte Folded Reload
	buffer_load_dword v35, off, s[36:39], 0 offset:108 ; 4-byte Folded Reload
	;; [unrolled: 1-line block ×4, first 2 shown]
	s_waitcnt vmcnt(0) lgkmcnt(1)
	v_mul_f64 v[29:30], v[36:37], v[18:19]
	v_mul_f64 v[31:32], v[36:37], v[16:17]
	global_store_dwordx4 v[20:21], v[0:3], off
	v_add_co_u32_e32 v20, vcc, s4, v20
	v_mul_f64 v[0:1], v[22:23], s[2:3]
	v_mul_f64 v[2:3], v[27:28], s[2:3]
	v_addc_co_u32_e32 v21, vcc, v21, v25, vcc
	v_fma_f64 v[16:17], v[34:35], v[16:17], v[29:30]
	v_fma_f64 v[18:19], v[34:35], v[18:19], -v[31:32]
	buffer_load_dword v29, off, s[36:39], 0 offset:56 ; 4-byte Folded Reload
	buffer_load_dword v30, off, s[36:39], 0 offset:60 ; 4-byte Folded Reload
	buffer_load_dword v31, off, s[36:39], 0 offset:64 ; 4-byte Folded Reload
	buffer_load_dword v32, off, s[36:39], 0 offset:68 ; 4-byte Folded Reload
	s_waitcnt vmcnt(0)
	v_mul_f64 v[22:23], v[31:32], v[10:11]
	v_mul_f64 v[27:28], v[31:32], v[8:9]
	global_store_dwordx4 v[20:21], v[0:3], off
	v_add_co_u32_e32 v20, vcc, s6, v20
	v_mul_f64 v[0:1], v[16:17], s[2:3]
	v_mul_f64 v[2:3], v[18:19], s[2:3]
	v_addc_co_u32_e32 v21, vcc, v21, v33, vcc
	v_fma_f64 v[8:9], v[29:30], v[8:9], v[22:23]
	v_fma_f64 v[16:17], v[29:30], v[10:11], -v[27:28]
	buffer_load_dword v27, off, s[36:39], 0 offset:72 ; 4-byte Folded Reload
	buffer_load_dword v28, off, s[36:39], 0 offset:76 ; 4-byte Folded Reload
	buffer_load_dword v29, off, s[36:39], 0 offset:80 ; 4-byte Folded Reload
	buffer_load_dword v30, off, s[36:39], 0 offset:84 ; 4-byte Folded Reload
	s_waitcnt vmcnt(0) lgkmcnt(0)
	v_mul_f64 v[18:19], v[29:30], v[6:7]
	v_mul_f64 v[22:23], v[29:30], v[4:5]
	global_store_dwordx4 v[20:21], v[0:3], off
	v_add_co_u32_e32 v20, vcc, s4, v20
	v_mul_f64 v[0:1], v[8:9], s[2:3]
	ds_read_b128 v[8:11], v26 offset:9408
	v_mul_f64 v[2:3], v[16:17], s[2:3]
	v_fma_f64 v[16:17], v[27:28], v[4:5], v[18:19]
	v_fma_f64 v[22:23], v[27:28], v[6:7], -v[22:23]
	ds_read_b128 v[4:7], v26 offset:10304
	buffer_load_dword v34, off, s[36:39], 0 offset:88 ; 4-byte Folded Reload
	buffer_load_dword v35, off, s[36:39], 0 offset:92 ; 4-byte Folded Reload
	;; [unrolled: 1-line block ×4, first 2 shown]
	v_addc_co_u32_e32 v21, vcc, v21, v25, vcc
	global_store_dwordx4 v[20:21], v[0:3], off
	s_nop 0
	v_mul_f64 v[0:1], v[16:17], s[2:3]
	ds_read_b128 v[16:19], v26 offset:3584
	v_mul_f64 v[2:3], v[22:23], s[2:3]
	v_add_co_u32_e32 v20, vcc, s6, v20
	v_addc_co_u32_e32 v21, vcc, v21, v33, vcc
	s_waitcnt vmcnt(1) lgkmcnt(2)
	v_mul_f64 v[27:28], v[36:37], v[10:11]
	v_mul_f64 v[29:30], v[36:37], v[8:9]
	v_fma_f64 v[22:23], v[34:35], v[8:9], v[27:28]
	v_fma_f64 v[27:28], v[34:35], v[10:11], -v[29:30]
	ds_read_b128 v[8:11], v26 offset:4480
	buffer_load_dword v34, off, s[36:39], 0 offset:120 ; 4-byte Folded Reload
	buffer_load_dword v35, off, s[36:39], 0 offset:124 ; 4-byte Folded Reload
	;; [unrolled: 1-line block ×4, first 2 shown]
	s_waitcnt vmcnt(0) lgkmcnt(1)
	v_mul_f64 v[29:30], v[36:37], v[18:19]
	v_mul_f64 v[31:32], v[36:37], v[16:17]
	global_store_dwordx4 v[20:21], v[0:3], off
	v_add_co_u32_e32 v20, vcc, s4, v20
	v_mul_f64 v[0:1], v[22:23], s[2:3]
	v_mul_f64 v[2:3], v[27:28], s[2:3]
	v_addc_co_u32_e32 v21, vcc, v21, v25, vcc
	v_fma_f64 v[16:17], v[34:35], v[16:17], v[29:30]
	v_fma_f64 v[18:19], v[34:35], v[18:19], -v[31:32]
	buffer_load_dword v29, off, s[36:39], 0 offset:144 ; 4-byte Folded Reload
	buffer_load_dword v30, off, s[36:39], 0 offset:148 ; 4-byte Folded Reload
	buffer_load_dword v31, off, s[36:39], 0 offset:152 ; 4-byte Folded Reload
	buffer_load_dword v32, off, s[36:39], 0 offset:156 ; 4-byte Folded Reload
	s_waitcnt vmcnt(0)
	v_mul_f64 v[22:23], v[31:32], v[6:7]
	v_mul_f64 v[27:28], v[31:32], v[4:5]
	global_store_dwordx4 v[20:21], v[0:3], off
	v_add_co_u32_e32 v20, vcc, s6, v20
	v_mul_f64 v[0:1], v[16:17], s[2:3]
	v_mul_f64 v[2:3], v[18:19], s[2:3]
	s_waitcnt lgkmcnt(0)
	v_mul_f64 v[18:19], v[50:51], v[10:11]
	v_fma_f64 v[4:5], v[29:30], v[4:5], v[22:23]
	v_fma_f64 v[16:17], v[29:30], v[6:7], -v[27:28]
	v_mul_f64 v[22:23], v[50:51], v[8:9]
	v_addc_co_u32_e32 v21, vcc, v21, v33, vcc
	global_store_dwordx4 v[20:21], v[0:3], off
	v_add_co_u32_e32 v20, vcc, s4, v20
	v_mul_f64 v[0:1], v[4:5], s[2:3]
	ds_read_b128 v[4:7], v26 offset:11200
	v_mul_f64 v[2:3], v[16:17], s[2:3]
	v_fma_f64 v[16:17], v[48:49], v[8:9], v[18:19]
	v_fma_f64 v[18:19], v[48:49], v[10:11], -v[22:23]
	ds_read_b128 v[8:11], v26 offset:12096
	buffer_load_dword v29, off, s[36:39], 0 offset:160 ; 4-byte Folded Reload
	buffer_load_dword v30, off, s[36:39], 0 offset:164 ; 4-byte Folded Reload
	;; [unrolled: 1-line block ×4, first 2 shown]
	v_addc_co_u32_e32 v21, vcc, v21, v25, vcc
	global_store_dwordx4 v[20:21], v[0:3], off
	s_nop 0
	v_mul_f64 v[0:1], v[16:17], s[2:3]
	v_mul_f64 v[2:3], v[18:19], s[2:3]
	v_add_co_u32_e32 v20, vcc, s6, v20
	v_addc_co_u32_e32 v21, vcc, v21, v33, vcc
	s_waitcnt vmcnt(1) lgkmcnt(1)
	v_mul_f64 v[22:23], v[31:32], v[6:7]
	v_mul_f64 v[27:28], v[31:32], v[4:5]
	v_fma_f64 v[4:5], v[29:30], v[4:5], v[22:23]
	v_fma_f64 v[6:7], v[29:30], v[6:7], -v[27:28]
	buffer_load_dword v29, off, s[36:39], 0 offset:176 ; 4-byte Folded Reload
	buffer_load_dword v30, off, s[36:39], 0 offset:180 ; 4-byte Folded Reload
	;; [unrolled: 1-line block ×8, first 2 shown]
	s_waitcnt vmcnt(4)
	v_mul_f64 v[16:17], v[31:32], v[14:15]
	v_mul_f64 v[18:19], v[31:32], v[12:13]
	s_waitcnt vmcnt(0) lgkmcnt(0)
	v_mul_f64 v[22:23], v[36:37], v[10:11]
	v_mul_f64 v[27:28], v[36:37], v[8:9]
	global_store_dwordx4 v[20:21], v[0:3], off
	v_fma_f64 v[8:9], v[34:35], v[8:9], v[22:23]
	v_mul_f64 v[0:1], v[4:5], s[2:3]
	v_mul_f64 v[2:3], v[6:7], s[2:3]
	v_fma_f64 v[4:5], v[29:30], v[12:13], v[16:17]
	v_fma_f64 v[6:7], v[29:30], v[14:15], -v[18:19]
	v_fma_f64 v[10:11], v[34:35], v[10:11], -v[27:28]
	v_add_co_u32_e32 v12, vcc, s4, v20
	v_mul_f64 v[8:9], v[8:9], s[2:3]
	v_addc_co_u32_e32 v13, vcc, v21, v25, vcc
	v_mul_f64 v[4:5], v[4:5], s[2:3]
	v_mul_f64 v[6:7], v[6:7], s[2:3]
	;; [unrolled: 1-line block ×3, first 2 shown]
	global_store_dwordx4 v[12:13], v[0:3], off
	s_nop 0
	v_add_co_u32_e32 v0, vcc, s6, v12
	v_addc_co_u32_e32 v1, vcc, v13, v33, vcc
	global_store_dwordx4 v[0:1], v[4:7], off
	v_add_co_u32_e32 v0, vcc, s4, v0
	v_addc_co_u32_e32 v1, vcc, v1, v25, vcc
	global_store_dwordx4 v[0:1], v[8:11], off
	s_and_b64 exec, exec, s[0:1]
	s_cbranch_execz .LBB0_39
; %bb.38:
	buffer_load_dword v16, off, s[36:39], 0 offset:4 ; 4-byte Folded Reload
	v_add_co_u32_e32 v2, vcc, 0x1000, v24
	s_movk_i32 s0, 0x3000
	s_waitcnt vmcnt(0)
	v_addc_co_u32_e32 v3, vcc, 0, v16, vcc
	global_load_dwordx4 v[2:5], v[2:3], off offset:2176
	ds_read_b128 v[6:9], v26 offset:6272
	ds_read_b128 v[10:13], v26 offset:12992
	s_waitcnt vmcnt(0) lgkmcnt(1)
	v_mul_f64 v[14:15], v[8:9], v[4:5]
	v_mul_f64 v[4:5], v[6:7], v[4:5]
	v_fma_f64 v[6:7], v[6:7], v[2:3], v[14:15]
	v_fma_f64 v[4:5], v[2:3], v[8:9], -v[4:5]
	v_mov_b32_e32 v8, s7
	v_mul_f64 v[2:3], v[6:7], s[2:3]
	v_mul_f64 v[4:5], v[4:5], s[2:3]
	v_add_co_u32_e32 v6, vcc, s6, v0
	v_addc_co_u32_e32 v7, vcc, v1, v8, vcc
	v_add_co_u32_e32 v0, vcc, s0, v24
	v_addc_co_u32_e32 v1, vcc, 0, v16, vcc
	global_store_dwordx4 v[6:7], v[2:5], off
	global_load_dwordx4 v[0:3], v[0:1], off offset:704
	s_waitcnt vmcnt(0) lgkmcnt(0)
	v_mul_f64 v[4:5], v[12:13], v[2:3]
	v_mul_f64 v[2:3], v[10:11], v[2:3]
	v_fma_f64 v[4:5], v[10:11], v[0:1], v[4:5]
	v_fma_f64 v[2:3], v[0:1], v[12:13], -v[2:3]
	v_mul_f64 v[0:1], v[4:5], s[2:3]
	v_mul_f64 v[2:3], v[2:3], s[2:3]
	v_mov_b32_e32 v5, s5
	v_add_co_u32_e32 v4, vcc, s4, v6
	v_addc_co_u32_e32 v5, vcc, v7, v5, vcc
	global_store_dwordx4 v[4:5], v[0:3], off
.LBB0_39:
	s_endpgm
	.section	.rodata,"a",@progbits
	.p2align	6, 0x0
	.amdhsa_kernel bluestein_single_fwd_len840_dim1_dp_op_CI_CI
		.amdhsa_group_segment_fixed_size 13440
		.amdhsa_private_segment_fixed_size 316
		.amdhsa_kernarg_size 104
		.amdhsa_user_sgpr_count 6
		.amdhsa_user_sgpr_private_segment_buffer 1
		.amdhsa_user_sgpr_dispatch_ptr 0
		.amdhsa_user_sgpr_queue_ptr 0
		.amdhsa_user_sgpr_kernarg_segment_ptr 1
		.amdhsa_user_sgpr_dispatch_id 0
		.amdhsa_user_sgpr_flat_scratch_init 0
		.amdhsa_user_sgpr_private_segment_size 0
		.amdhsa_uses_dynamic_stack 0
		.amdhsa_system_sgpr_private_segment_wavefront_offset 1
		.amdhsa_system_sgpr_workgroup_id_x 1
		.amdhsa_system_sgpr_workgroup_id_y 0
		.amdhsa_system_sgpr_workgroup_id_z 0
		.amdhsa_system_sgpr_workgroup_info 0
		.amdhsa_system_vgpr_workitem_id 0
		.amdhsa_next_free_vgpr 256
		.amdhsa_next_free_sgpr 40
		.amdhsa_reserve_vcc 1
		.amdhsa_reserve_flat_scratch 0
		.amdhsa_float_round_mode_32 0
		.amdhsa_float_round_mode_16_64 0
		.amdhsa_float_denorm_mode_32 3
		.amdhsa_float_denorm_mode_16_64 3
		.amdhsa_dx10_clamp 1
		.amdhsa_ieee_mode 1
		.amdhsa_fp16_overflow 0
		.amdhsa_exception_fp_ieee_invalid_op 0
		.amdhsa_exception_fp_denorm_src 0
		.amdhsa_exception_fp_ieee_div_zero 0
		.amdhsa_exception_fp_ieee_overflow 0
		.amdhsa_exception_fp_ieee_underflow 0
		.amdhsa_exception_fp_ieee_inexact 0
		.amdhsa_exception_int_div_zero 0
	.end_amdhsa_kernel
	.text
.Lfunc_end0:
	.size	bluestein_single_fwd_len840_dim1_dp_op_CI_CI, .Lfunc_end0-bluestein_single_fwd_len840_dim1_dp_op_CI_CI
                                        ; -- End function
	.section	.AMDGPU.csdata,"",@progbits
; Kernel info:
; codeLenInByte = 23436
; NumSgprs: 44
; NumVgprs: 256
; ScratchSize: 316
; MemoryBound: 0
; FloatMode: 240
; IeeeMode: 1
; LDSByteSize: 13440 bytes/workgroup (compile time only)
; SGPRBlocks: 5
; VGPRBlocks: 63
; NumSGPRsForWavesPerEU: 44
; NumVGPRsForWavesPerEU: 256
; Occupancy: 1
; WaveLimiterHint : 1
; COMPUTE_PGM_RSRC2:SCRATCH_EN: 1
; COMPUTE_PGM_RSRC2:USER_SGPR: 6
; COMPUTE_PGM_RSRC2:TRAP_HANDLER: 0
; COMPUTE_PGM_RSRC2:TGID_X_EN: 1
; COMPUTE_PGM_RSRC2:TGID_Y_EN: 0
; COMPUTE_PGM_RSRC2:TGID_Z_EN: 0
; COMPUTE_PGM_RSRC2:TIDIG_COMP_CNT: 0
	.type	__hip_cuid_7b60ffbf3fe66666,@object ; @__hip_cuid_7b60ffbf3fe66666
	.section	.bss,"aw",@nobits
	.globl	__hip_cuid_7b60ffbf3fe66666
__hip_cuid_7b60ffbf3fe66666:
	.byte	0                               ; 0x0
	.size	__hip_cuid_7b60ffbf3fe66666, 1

	.ident	"AMD clang version 19.0.0git (https://github.com/RadeonOpenCompute/llvm-project roc-6.4.0 25133 c7fe45cf4b819c5991fe208aaa96edf142730f1d)"
	.section	".note.GNU-stack","",@progbits
	.addrsig
	.addrsig_sym __hip_cuid_7b60ffbf3fe66666
	.amdgpu_metadata
---
amdhsa.kernels:
  - .args:
      - .actual_access:  read_only
        .address_space:  global
        .offset:         0
        .size:           8
        .value_kind:     global_buffer
      - .actual_access:  read_only
        .address_space:  global
        .offset:         8
        .size:           8
        .value_kind:     global_buffer
      - .actual_access:  read_only
        .address_space:  global
        .offset:         16
        .size:           8
        .value_kind:     global_buffer
      - .actual_access:  read_only
        .address_space:  global
        .offset:         24
        .size:           8
        .value_kind:     global_buffer
      - .actual_access:  read_only
        .address_space:  global
        .offset:         32
        .size:           8
        .value_kind:     global_buffer
      - .offset:         40
        .size:           8
        .value_kind:     by_value
      - .address_space:  global
        .offset:         48
        .size:           8
        .value_kind:     global_buffer
      - .address_space:  global
        .offset:         56
        .size:           8
        .value_kind:     global_buffer
      - .address_space:  global
        .offset:         64
        .size:           8
        .value_kind:     global_buffer
      - .address_space:  global
        .offset:         72
        .size:           8
        .value_kind:     global_buffer
      - .offset:         80
        .size:           4
        .value_kind:     by_value
      - .address_space:  global
        .offset:         88
        .size:           8
        .value_kind:     global_buffer
      - .address_space:  global
        .offset:         96
        .size:           8
        .value_kind:     global_buffer
    .group_segment_fixed_size: 13440
    .kernarg_segment_align: 8
    .kernarg_segment_size: 104
    .language:       OpenCL C
    .language_version:
      - 2
      - 0
    .max_flat_workgroup_size: 56
    .name:           bluestein_single_fwd_len840_dim1_dp_op_CI_CI
    .private_segment_fixed_size: 316
    .sgpr_count:     44
    .sgpr_spill_count: 0
    .symbol:         bluestein_single_fwd_len840_dim1_dp_op_CI_CI.kd
    .uniform_work_group_size: 1
    .uses_dynamic_stack: false
    .vgpr_count:     256
    .vgpr_spill_count: 78
    .wavefront_size: 64
amdhsa.target:   amdgcn-amd-amdhsa--gfx906
amdhsa.version:
  - 1
  - 2
...

	.end_amdgpu_metadata
